;; amdgpu-corpus repo=ROCm/rocFFT kind=compiled arch=gfx1201 opt=O3
	.text
	.amdgcn_target "amdgcn-amd-amdhsa--gfx1201"
	.amdhsa_code_object_version 6
	.protected	bluestein_single_fwd_len1584_dim1_dp_op_CI_CI ; -- Begin function bluestein_single_fwd_len1584_dim1_dp_op_CI_CI
	.globl	bluestein_single_fwd_len1584_dim1_dp_op_CI_CI
	.p2align	8
	.type	bluestein_single_fwd_len1584_dim1_dp_op_CI_CI,@function
bluestein_single_fwd_len1584_dim1_dp_op_CI_CI: ; @bluestein_single_fwd_len1584_dim1_dp_op_CI_CI
; %bb.0:
	s_load_b128 s[8:11], s[0:1], 0x28
	v_mul_u32_u24_e32 v1, 0x175, v0
	s_mov_b32 s2, exec_lo
	v_mov_b32_e32 v224, 0
	s_delay_alu instid0(VALU_DEP_2) | instskip(NEXT) | instid1(VALU_DEP_1)
	v_lshrrev_b32_e32 v1, 16, v1
	v_add_nc_u32_e32 v223, ttmp9, v1
	s_wait_kmcnt 0x0
	s_delay_alu instid0(VALU_DEP_1)
	v_cmpx_gt_u64_e64 s[8:9], v[223:224]
	s_cbranch_execz .LBB0_39
; %bb.1:
	s_clause 0x1
	s_load_b128 s[4:7], s[0:1], 0x18
	s_load_b64 s[16:17], s[0:1], 0x0
	v_mul_lo_u16 v1, 0xb0, v1
	s_movk_i32 s2, 0xfc0c
	s_mov_b32 s3, -1
	s_delay_alu instid0(VALU_DEP_1) | instskip(NEXT) | instid1(VALU_DEP_1)
	v_sub_nc_u16 v98, v0, v1
	v_and_b32_e32 v220, 0xffff, v98
	s_wait_kmcnt 0x0
	s_load_b128 s[12:15], s[4:5], 0x0
	s_wait_kmcnt 0x0
	v_mad_co_u64_u32 v[8:9], null, s14, v223, 0
	v_mad_co_u64_u32 v[24:25], null, s12, v220, 0
	s_mul_u64 s[4:5], s[12:13], 0x18c
	s_mul_u64 s[2:3], s[12:13], s[2:3]
	s_delay_alu instid0(SALU_CYCLE_1) | instskip(NEXT) | instid1(VALU_DEP_1)
	s_lshl_b64 s[2:3], s[2:3], 4
	v_dual_mov_b32 v1, v25 :: v_dual_mov_b32 v0, v9
	v_lshlrev_b32_e32 v219, 4, v220
	s_delay_alu instid0(VALU_DEP_2) | instskip(NEXT) | instid1(VALU_DEP_2)
	v_mad_co_u64_u32 v[2:3], null, s15, v223, v[0:1]
	v_add_co_u32 v169, s12, s16, v219
	s_wait_alu 0xf1ff
	v_add_co_ci_u32_e64 v170, null, s17, 0, s12
	s_delay_alu instid0(VALU_DEP_3)
	v_mad_co_u64_u32 v[10:11], null, s13, v220, v[1:2]
	v_mov_b32_e32 v9, v2
	s_clause 0x1
	global_load_b128 v[228:231], v219, s[16:17] offset:12672
	global_load_b128 v[0:3], v219, s[16:17] offset:19008
	v_lshlrev_b64_e32 v[26:27], 4, v[8:9]
	v_mov_b32_e32 v25, v10
	s_clause 0x3
	global_load_b128 v[232:235], v219, s[16:17]
	global_load_b128 v[4:7], v219, s[16:17] offset:2816
	global_load_b128 v[8:11], v219, s[16:17] offset:6336
	;; [unrolled: 1-line block ×3, first 2 shown]
	v_lshlrev_b64_e32 v[24:25], 4, v[24:25]
	v_add_co_u32 v26, vcc_lo, s10, v26
	v_add_co_ci_u32_e32 v27, vcc_lo, s11, v27, vcc_lo
	s_lshl_b64 s[10:11], s[4:5], 4
	s_delay_alu instid0(VALU_DEP_2) | instskip(SKIP_1) | instid1(VALU_DEP_2)
	v_add_co_u32 v24, vcc_lo, v26, v24
	s_wait_alu 0xfffd
	v_add_co_ci_u32_e32 v25, vcc_lo, v27, v25, vcc_lo
	s_wait_alu 0xfffe
	s_delay_alu instid0(VALU_DEP_2) | instskip(SKIP_1) | instid1(VALU_DEP_2)
	v_add_co_u32 v26, vcc_lo, v24, s10
	s_wait_alu 0xfffd
	v_add_co_ci_u32_e32 v27, vcc_lo, s11, v25, vcc_lo
	s_clause 0x1
	global_load_b128 v[34:37], v[24:25], off
	global_load_b128 v[38:41], v[26:27], off
	v_add_co_u32 v28, vcc_lo, v26, s10
	s_wait_alu 0xfffd
	v_add_co_ci_u32_e32 v29, vcc_lo, s11, v27, vcc_lo
	s_delay_alu instid0(VALU_DEP_2) | instskip(SKIP_1) | instid1(VALU_DEP_2)
	v_add_co_u32 v30, vcc_lo, v28, s10
	s_wait_alu 0xfffd
	v_add_co_ci_u32_e32 v31, vcc_lo, s11, v29, vcc_lo
	s_clause 0x1
	global_load_b128 v[42:45], v[28:29], off
	global_load_b128 v[46:49], v[30:31], off
	v_add_co_u32 v24, vcc_lo, v30, s2
	s_wait_alu 0xfffd
	v_add_co_ci_u32_e32 v25, vcc_lo, s3, v31, vcc_lo
	s_delay_alu instid0(VALU_DEP_2) | instskip(SKIP_1) | instid1(VALU_DEP_2)
	v_add_co_u32 v26, vcc_lo, v24, s10
	s_wait_alu 0xfffd
	v_add_co_ci_u32_e32 v27, vcc_lo, s11, v25, vcc_lo
	global_load_b128 v[50:53], v[24:25], off
	v_add_co_u32 v28, vcc_lo, v26, s10
	s_wait_alu 0xfffd
	v_add_co_ci_u32_e32 v29, vcc_lo, s11, v27, vcc_lo
	global_load_b128 v[54:57], v[26:27], off
	v_add_co_u32 v32, vcc_lo, v28, s10
	s_wait_alu 0xfffd
	v_add_co_ci_u32_e32 v33, vcc_lo, s11, v29, vcc_lo
	global_load_b128 v[16:19], v219, s[16:17] offset:15488
	global_load_b128 v[58:61], v[28:29], off
	global_load_b128 v[28:31], v219, s[16:17] offset:21824
	global_load_b128 v[62:65], v[32:33], off
	v_cmp_gt_u16_e32 vcc_lo, 44, v98
	s_wait_loadcnt 0xc
	scratch_store_b128 off, v[4:7], off     ; 16-byte Folded Spill
	s_wait_loadcnt 0xb
	scratch_store_b128 off, v[8:11], off offset:16 ; 16-byte Folded Spill
	s_wait_loadcnt 0xa
	scratch_store_b128 off, v[12:15], off offset:32 ; 16-byte Folded Spill
	s_wait_loadcnt 0x9
	v_mul_f64_e32 v[66:67], v[36:37], v[234:235]
	v_mul_f64_e32 v[68:69], v[34:35], v[234:235]
	s_wait_loadcnt 0x8
	v_mul_f64_e32 v[70:71], v[40:41], v[10:11]
	v_mul_f64_e32 v[72:73], v[38:39], v[10:11]
	;; [unrolled: 3-line block ×6, first 2 shown]
	s_wait_loadcnt 0x3
	scratch_store_b128 off, v[16:19], off offset:48 ; 16-byte Folded Spill
	s_wait_loadcnt 0x2
	v_mul_f64_e32 v[90:91], v[60:61], v[18:19]
	v_mul_f64_e32 v[92:93], v[58:59], v[18:19]
	s_wait_loadcnt 0x0
	v_mul_f64_e32 v[94:95], v[64:65], v[30:31]
	v_mul_f64_e32 v[96:97], v[62:63], v[30:31]
	s_load_b64 s[8:9], s[0:1], 0x38
	s_load_b128 s[4:7], s[6:7], 0x0
	v_fma_f64 v[34:35], v[34:35], v[232:233], v[66:67]
	v_fma_f64 v[36:37], v[36:37], v[232:233], -v[68:69]
	v_fma_f64 v[38:39], v[38:39], v[8:9], v[70:71]
	v_fma_f64 v[40:41], v[40:41], v[8:9], -v[72:73]
	;; [unrolled: 2-line block ×6, first 2 shown]
	ds_store_b128 v219, v[34:37]
	ds_store_b128 v219, v[50:53] offset:2816
	ds_store_b128 v219, v[38:41] offset:6336
	;; [unrolled: 1-line block ×3, first 2 shown]
	v_fma_f64 v[58:59], v[58:59], v[16:17], v[90:91]
	v_fma_f64 v[60:61], v[60:61], v[16:17], -v[92:93]
	v_fma_f64 v[62:63], v[62:63], v[28:29], v[94:95]
	v_fma_f64 v[64:65], v[64:65], v[28:29], -v[96:97]
	ds_store_b128 v219, v[42:45] offset:12672
	ds_store_b128 v219, v[58:61] offset:15488
	;; [unrolled: 1-line block ×4, first 2 shown]
	s_and_saveexec_b32 s12, vcc_lo
	s_cbranch_execz .LBB0_3
; %bb.2:
	v_add_co_u32 v36, s2, v32, s2
	s_wait_alu 0xf1ff
	v_add_co_ci_u32_e64 v37, s2, s3, v33, s2
	s_delay_alu instid0(VALU_DEP_2) | instskip(SKIP_1) | instid1(VALU_DEP_2)
	v_add_co_u32 v40, s2, v36, s10
	s_wait_alu 0xf1ff
	v_add_co_ci_u32_e64 v41, s2, s11, v37, s2
	global_load_b128 v[32:35], v[36:37], off
	v_add_co_u32 v48, s2, v40, s10
	s_wait_alu 0xf1ff
	v_add_co_ci_u32_e64 v49, s2, s11, v41, s2
	global_load_b128 v[36:39], v[169:170], off offset:5632
	v_add_co_u32 v60, s2, v48, s10
	global_load_b128 v[40:43], v[40:41], off
	s_wait_alu 0xf1ff
	v_add_co_ci_u32_e64 v61, s2, s11, v49, s2
	global_load_b128 v[44:47], v[169:170], off offset:11968
	global_load_b128 v[48:51], v[48:49], off
	s_clause 0x1
	global_load_b128 v[52:55], v[169:170], off offset:18304
	global_load_b128 v[56:59], v[169:170], off offset:24640
	global_load_b128 v[60:63], v[60:61], off
	s_wait_loadcnt 0x6
	v_mul_f64_e32 v[64:65], v[34:35], v[38:39]
	v_mul_f64_e32 v[38:39], v[32:33], v[38:39]
	s_wait_loadcnt 0x4
	v_mul_f64_e32 v[66:67], v[42:43], v[46:47]
	v_mul_f64_e32 v[46:47], v[40:41], v[46:47]
	;; [unrolled: 3-line block ×4, first 2 shown]
	v_fma_f64 v[32:33], v[32:33], v[36:37], v[64:65]
	v_fma_f64 v[34:35], v[34:35], v[36:37], -v[38:39]
	v_fma_f64 v[36:37], v[40:41], v[44:45], v[66:67]
	v_fma_f64 v[38:39], v[42:43], v[44:45], -v[46:47]
	;; [unrolled: 2-line block ×4, first 2 shown]
	ds_store_b128 v219, v[32:35] offset:5632
	ds_store_b128 v219, v[36:39] offset:11968
	ds_store_b128 v219, v[40:43] offset:18304
	ds_store_b128 v219, v[44:47] offset:24640
.LBB0_3:
	s_wait_alu 0xfffe
	s_or_b32 exec_lo, exec_lo, s12
	global_wb scope:SCOPE_SE
	s_wait_storecnt_dscnt 0x0
	s_wait_kmcnt 0x0
	s_barrier_signal -1
	s_barrier_wait -1
	global_inv scope:SCOPE_SE
	ds_load_b128 v[32:35], v219
	ds_load_b128 v[36:39], v219 offset:2816
	ds_load_b128 v[44:47], v219 offset:6336
	;; [unrolled: 1-line block ×7, first 2 shown]
                                        ; implicit-def: $vgpr48_vgpr49
                                        ; implicit-def: $vgpr68_vgpr69
                                        ; implicit-def: $vgpr60_vgpr61
                                        ; implicit-def: $vgpr52_vgpr53
	s_and_saveexec_b32 s2, vcc_lo
	s_cbranch_execz .LBB0_5
; %bb.4:
	ds_load_b128 v[48:51], v219 offset:5632
	ds_load_b128 v[52:55], v219 offset:11968
	;; [unrolled: 1-line block ×4, first 2 shown]
.LBB0_5:
	s_wait_alu 0xfffe
	s_or_b32 exec_lo, exec_lo, s2
	s_wait_dscnt 0x3
	v_add_f64_e64 v[76:77], v[32:33], -v[76:77]
	v_add_f64_e64 v[78:79], v[34:35], -v[78:79]
	s_wait_dscnt 0x1
	v_add_f64_e64 v[72:73], v[44:45], -v[72:73]
	v_add_f64_e64 v[74:75], v[46:47], -v[74:75]
	v_add_f64_e64 v[84:85], v[48:49], -v[60:61]
	v_add_f64_e64 v[86:87], v[50:51], -v[62:63]
	s_wait_dscnt 0x0
	v_add_f64_e64 v[60:61], v[52:53], -v[68:69]
	v_add_f64_e64 v[62:63], v[54:55], -v[70:71]
	;; [unrolled: 1-line block ×6, first 2 shown]
	s_load_b64 s[2:3], s[0:1], 0x8
	v_add_co_u32 v237, null, 0x160, v220
	global_wb scope:SCOPE_SE
	s_wait_kmcnt 0x0
	s_barrier_signal -1
	s_barrier_wait -1
	v_lshlrev_b32_e32 v5, 6, v237
	global_inv scope:SCOPE_SE
	v_fma_f64 v[32:33], v[32:33], 2.0, -v[76:77]
	v_fma_f64 v[34:35], v[34:35], 2.0, -v[78:79]
	;; [unrolled: 1-line block ×12, first 2 shown]
	v_add_f64_e64 v[36:37], v[76:77], -v[74:75]
	v_add_f64_e32 v[38:39], v[78:79], v[72:73]
	v_add_f64_e64 v[44:45], v[80:81], -v[58:59]
	v_add_f64_e32 v[46:47], v[82:83], v[56:57]
	v_add_f64_e64 v[48:49], v[32:33], -v[64:65]
	v_add_f64_e64 v[50:51], v[34:35], -v[66:67]
	;; [unrolled: 1-line block ×3, first 2 shown]
	v_add_f64_e32 v[66:67], v[86:87], v[60:61]
	v_add_f64_e64 v[88:89], v[96:97], -v[68:69]
	v_add_f64_e64 v[90:91], v[98:99], -v[70:71]
	;; [unrolled: 1-line block ×4, first 2 shown]
	v_fma_f64 v[56:57], v[76:77], 2.0, -v[36:37]
	v_fma_f64 v[58:59], v[78:79], 2.0, -v[38:39]
	;; [unrolled: 1-line block ×4, first 2 shown]
	v_lshlrev_b16 v76, 2, v220
	v_add_co_u32 v80, null, 0xb0, v220
	s_delay_alu instid0(VALU_DEP_2) | instskip(NEXT) | instid1(VALU_DEP_2)
	v_and_b32_e32 v76, 0xffff, v76
	v_lshlrev_b32_e32 v16, 6, v80
	s_delay_alu instid0(VALU_DEP_2)
	v_lshlrev_b32_e32 v6, 4, v76
	v_fma_f64 v[68:69], v[32:33], 2.0, -v[48:49]
	v_fma_f64 v[70:71], v[34:35], 2.0, -v[50:51]
	;; [unrolled: 1-line block ×8, first 2 shown]
	ds_store_b128 v6, v[48:51] offset:32
	ds_store_b128 v6, v[36:39] offset:48
	ds_store_b128 v6, v[68:71]
	ds_store_b128 v6, v[56:59] offset:16
	ds_store_b128 v16, v[72:75]
	ds_store_b128 v16, v[60:63] offset:16
	ds_store_b128 v16, v[52:55] offset:32
	;; [unrolled: 1-line block ×3, first 2 shown]
	s_and_saveexec_b32 s0, vcc_lo
	s_cbranch_execz .LBB0_7
; %bb.6:
	ds_store_b128 v5, v[32:35]
	ds_store_b128 v5, v[40:43] offset:16
	ds_store_b128 v5, v[88:91] offset:32
	;; [unrolled: 1-line block ×3, first 2 shown]
.LBB0_7:
	s_wait_alu 0xfffe
	s_or_b32 exec_lo, exec_lo, s0
	global_wb scope:SCOPE_SE
	s_wait_dscnt 0x0
	s_barrier_signal -1
	s_barrier_wait -1
	global_inv scope:SCOPE_SE
	ds_load_b128 v[44:47], v219
	ds_load_b128 v[48:51], v219 offset:2816
	ds_load_b128 v[68:71], v219 offset:12672
	;; [unrolled: 1-line block ×7, first 2 shown]
	v_cmp_gt_u16_e64 s0, 0x58, v220
	s_delay_alu instid0(VALU_DEP_1)
	s_and_saveexec_b32 s1, s0
	s_cbranch_execz .LBB0_9
; %bb.8:
	ds_load_b128 v[32:35], v219 offset:11264
	ds_load_b128 v[40:43], v219 offset:23936
.LBB0_9:
	s_wait_alu 0xfffe
	s_or_b32 exec_lo, exec_lo, s1
	v_and_b32_e32 v239, 3, v220
	v_lshlrev_b32_e32 v25, 1, v220
	v_lshlrev_b32_e32 v21, 1, v80
	;; [unrolled: 1-line block ×3, first 2 shown]
	v_add_co_u32 v80, null, 0x2c0, v220
	v_lshlrev_b32_e32 v36, 4, v239
	v_add_nc_u32_e32 v129, 0x420, v25
	s_delay_alu instid0(VALU_DEP_3)
	v_lshlrev_b32_e32 v225, 1, v80
	global_load_b128 v[36:39], v36, s[2:3]
	v_and_or_b32 v80, 0x7f8, v129, v239
	global_wb scope:SCOPE_SE
	s_wait_loadcnt_dscnt 0x0
	s_barrier_signal -1
	s_barrier_wait -1
	global_inv scope:SCOPE_SE
	v_lshlrev_b32_e32 v4, 4, v80
	v_mul_f64_e32 v[81:82], v[70:71], v[38:39]
	v_mul_f64_e32 v[83:84], v[68:69], v[38:39]
	;; [unrolled: 1-line block ×10, first 2 shown]
	v_fma_f64 v[68:69], v[68:69], v[36:37], -v[81:82]
	v_fma_f64 v[70:71], v[70:71], v[36:37], v[83:84]
	v_fma_f64 v[40:41], v[40:41], v[36:37], -v[102:103]
	v_fma_f64 v[42:43], v[42:43], v[36:37], v[104:105]
	;; [unrolled: 2-line block ×5, first 2 shown]
	v_add_f64_e64 v[60:61], v[44:45], -v[68:69]
	v_add_f64_e64 v[62:63], v[46:47], -v[70:71]
	;; [unrolled: 1-line block ×10, first 2 shown]
	v_and_or_b32 v81, 0x1f8, v25, v239
	v_and_or_b32 v82, 0x3f8, v21, v239
	;; [unrolled: 1-line block ×3, first 2 shown]
	s_delay_alu instid0(VALU_DEP_3) | instskip(NEXT) | instid1(VALU_DEP_3)
	v_lshlrev_b32_e32 v17, 4, v81
	v_lshlrev_b32_e32 v19, 4, v82
	s_delay_alu instid0(VALU_DEP_3)
	v_lshlrev_b32_e32 v18, 4, v83
	v_fma_f64 v[44:45], v[44:45], 2.0, -v[60:61]
	v_fma_f64 v[46:47], v[46:47], 2.0, -v[62:63]
	;; [unrolled: 1-line block ×10, first 2 shown]
	ds_store_b128 v17, v[44:47]
	ds_store_b128 v17, v[60:63] offset:64
	ds_store_b128 v19, v[48:51]
	ds_store_b128 v19, v[68:71] offset:64
	;; [unrolled: 2-line block ×4, first 2 shown]
	s_and_saveexec_b32 s1, s0
	s_cbranch_execz .LBB0_11
; %bb.10:
	v_and_or_b32 v44, 0x7f8, v225, v239
	s_delay_alu instid0(VALU_DEP_1)
	v_lshlrev_b32_e32 v44, 4, v44
	ds_store_b128 v44, v[32:35]
	ds_store_b128 v44, v[40:43] offset:64
.LBB0_11:
	s_wait_alu 0xfffe
	s_or_b32 exec_lo, exec_lo, s1
	global_wb scope:SCOPE_SE
	s_wait_dscnt 0x0
	s_barrier_signal -1
	s_barrier_wait -1
	global_inv scope:SCOPE_SE
	ds_load_b128 v[48:51], v219
	ds_load_b128 v[52:55], v219 offset:2816
	ds_load_b128 v[72:75], v219 offset:12672
	;; [unrolled: 1-line block ×7, first 2 shown]
	s_and_saveexec_b32 s1, s0
	s_cbranch_execz .LBB0_13
; %bb.12:
	ds_load_b128 v[32:35], v219 offset:11264
	ds_load_b128 v[40:43], v219 offset:23936
.LBB0_13:
	s_wait_alu 0xfffe
	s_or_b32 exec_lo, exec_lo, s1
	v_and_b32_e32 v227, 7, v220
	s_delay_alu instid0(VALU_DEP_1)
	v_lshlrev_b32_e32 v44, 4, v227
	global_load_b128 v[44:47], v44, s[2:3] offset:64
	global_wb scope:SCOPE_SE
	s_wait_loadcnt_dscnt 0x0
	s_barrier_signal -1
	s_barrier_wait -1
	global_inv scope:SCOPE_SE
	v_mul_f64_e32 v[84:85], v[74:75], v[46:47]
	v_mul_f64_e32 v[86:87], v[72:73], v[46:47]
	;; [unrolled: 1-line block ×10, first 2 shown]
	v_fma_f64 v[72:73], v[72:73], v[44:45], -v[84:85]
	v_fma_f64 v[74:75], v[74:75], v[44:45], v[86:87]
	v_fma_f64 v[68:69], v[68:69], v[44:45], -v[92:93]
	v_fma_f64 v[70:71], v[70:71], v[44:45], v[94:95]
	;; [unrolled: 2-line block ×5, first 2 shown]
	v_add_f64_e64 v[100:101], v[48:49], -v[72:73]
	v_add_f64_e64 v[102:103], v[50:51], -v[74:75]
	;; [unrolled: 1-line block ×10, first 2 shown]
	v_fma_f64 v[84:85], v[48:49], 2.0, -v[100:101]
	v_fma_f64 v[86:87], v[50:51], 2.0, -v[102:103]
	v_fma_f64 v[116:117], v[52:53], 2.0, -v[108:109]
	v_fma_f64 v[118:119], v[54:55], 2.0, -v[110:111]
	v_fma_f64 v[104:105], v[56:57], 2.0, -v[92:93]
	v_fma_f64 v[106:107], v[58:59], 2.0, -v[94:95]
	v_fma_f64 v[96:97], v[60:61], 2.0, -v[112:113]
	v_fma_f64 v[98:99], v[62:63], 2.0, -v[114:115]
	v_fma_f64 v[120:121], v[32:33], 2.0, -v[124:125]
	v_fma_f64 v[122:123], v[34:35], 2.0, -v[126:127]
	v_and_or_b32 v32, 0x1f0, v25, v227
	v_and_or_b32 v33, 0x3f0, v21, v227
	v_and_or_b32 v34, 0x7f0, v128, v227
	v_and_or_b32 v35, 0x7f0, v129, v227
	s_delay_alu instid0(VALU_DEP_4) | instskip(NEXT) | instid1(VALU_DEP_4)
	v_lshlrev_b32_e32 v24, 4, v32
	v_lshlrev_b32_e32 v23, 4, v33
	s_delay_alu instid0(VALU_DEP_4) | instskip(NEXT) | instid1(VALU_DEP_4)
	v_lshlrev_b32_e32 v22, 4, v34
	v_lshlrev_b32_e32 v20, 4, v35
	ds_store_b128 v24, v[84:87]
	ds_store_b128 v24, v[100:103] offset:128
	ds_store_b128 v23, v[116:119]
	ds_store_b128 v23, v[108:111] offset:128
	;; [unrolled: 2-line block ×4, first 2 shown]
	s_and_saveexec_b32 s1, s0
	s_cbranch_execz .LBB0_15
; %bb.14:
	v_and_or_b32 v32, 0x7f0, v225, v227
	s_delay_alu instid0(VALU_DEP_1)
	v_lshlrev_b32_e32 v32, 4, v32
	ds_store_b128 v32, v[120:123]
	ds_store_b128 v32, v[124:127] offset:128
.LBB0_15:
	s_wait_alu 0xfffe
	s_or_b32 exec_lo, exec_lo, s1
	v_cmp_gt_u16_e64 s1, 0x90, v220
	global_wb scope:SCOPE_SE
	s_wait_dscnt 0x0
	s_barrier_signal -1
	s_barrier_wait -1
	global_inv scope:SCOPE_SE
	s_and_saveexec_b32 s10, s1
	s_cbranch_execz .LBB0_17
; %bb.16:
	ds_load_b128 v[84:87], v219
	ds_load_b128 v[100:103], v219 offset:2304
	ds_load_b128 v[116:119], v219 offset:4608
	;; [unrolled: 1-line block ×10, first 2 shown]
.LBB0_17:
	s_wait_alu 0xfffe
	s_or_b32 exec_lo, exec_lo, s10
	v_and_b32_e32 v238, 15, v220
	s_mov_b32 s12, 0xf8bb580b
	s_mov_b32 s10, 0x8eee2c13
	s_mov_b32 s13, 0xbfe14ced
	s_mov_b32 s11, 0xbfed1bb4
	v_mad_co_u64_u32 v[76:77], null, 0xa0, v238, s[2:3]
	s_mov_b32 s18, 0x8764f0ba
	s_mov_b32 s14, 0xd9c712b6
	;; [unrolled: 1-line block ×6, first 2 shown]
	s_clause 0x9
	global_load_b128 v[32:35], v[76:77], off offset:192
	global_load_b128 v[40:43], v[76:77], off offset:336
	global_load_b128 v[48:51], v[76:77], off offset:208
	global_load_b128 v[52:55], v[76:77], off offset:320
	global_load_b128 v[60:63], v[76:77], off offset:224
	global_load_b128 v[56:59], v[76:77], off offset:304
	global_load_b128 v[72:75], v[76:77], off offset:240
	global_load_b128 v[68:71], v[76:77], off offset:288
	global_load_b128 v[80:83], v[76:77], off offset:256
	global_load_b128 v[76:79], v[76:77], off offset:272
	s_mov_b32 s20, 0x7f775887
	s_mov_b32 s24, 0x43842ef
	;; [unrolled: 1-line block ×15, first 2 shown]
	s_wait_alu 0xfffe
	s_mov_b32 s36, s12
	v_lshrrev_b32_e32 v224, 4, v220
	global_wb scope:SCOPE_SE
	s_wait_loadcnt_dscnt 0x0
	s_barrier_signal -1
	s_barrier_wait -1
	global_inv scope:SCOPE_SE
	v_mul_f64_e32 v[128:129], v[100:101], v[34:35]
	v_mul_f64_e32 v[130:131], v[88:89], v[42:43]
	;; [unrolled: 1-line block ×12, first 2 shown]
	v_fma_f64 v[191:192], v[102:103], v[32:33], v[128:129]
	v_fma_f64 v[90:91], v[90:91], v[40:41], v[130:131]
	v_fma_f64 v[193:194], v[100:101], v[32:33], -v[132:133]
	v_fma_f64 v[88:89], v[88:89], v[40:41], -v[134:135]
	v_mul_f64_e32 v[128:129], v[110:111], v[62:63]
	v_mul_f64_e32 v[130:131], v[108:109], v[62:63]
	v_fma_f64 v[116:117], v[116:117], v[48:49], -v[136:137]
	v_fma_f64 v[118:119], v[118:119], v[48:49], v[138:139]
	v_fma_f64 v[102:103], v[126:127], v[52:53], v[140:141]
	v_fma_f64 v[100:101], v[124:125], v[52:53], -v[142:143]
	v_mul_f64_e32 v[124:125], v[106:107], v[74:75]
	v_mul_f64_e32 v[126:127], v[104:105], v[74:75]
	;; [unrolled: 1-line block ×4, first 2 shown]
	v_add_f64_e64 v[201:202], v[191:192], -v[90:91]
	v_add_f64_e32 v[211:212], v[191:192], v[90:91]
	v_add_f64_e64 v[205:206], v[193:194], -v[88:89]
	v_fma_f64 v[132:133], v[108:109], v[60:61], -v[128:129]
	v_fma_f64 v[134:135], v[110:111], v[60:61], v[130:131]
	v_fma_f64 v[110:111], v[122:123], v[56:57], v[144:145]
	v_fma_f64 v[108:109], v[120:121], v[56:57], -v[146:147]
	v_add_f64_e64 v[144:145], v[118:119], -v[102:103]
	v_add_f64_e64 v[136:137], v[116:117], -v[100:101]
	v_add_f64_e32 v[207:208], v[193:194], v[88:89]
	v_mul_f64_e32 v[128:129], v[94:95], v[82:83]
	v_mul_f64_e32 v[130:131], v[92:93], v[82:83]
	v_fma_f64 v[120:121], v[104:105], v[72:73], -v[124:125]
	v_fma_f64 v[122:123], v[106:107], v[72:73], v[126:127]
	v_fma_f64 v[104:105], v[112:113], v[68:69], -v[138:139]
	v_fma_f64 v[106:107], v[114:115], v[68:69], v[140:141]
	v_add_f64_e32 v[112:113], v[116:117], v[100:101]
	v_add_f64_e32 v[140:141], v[118:119], v[102:103]
	v_mul_f64_e32 v[209:210], s[12:13], v[201:202]
	v_mul_f64_e32 v[215:216], s[10:11], v[201:202]
	;; [unrolled: 1-line block ×4, first 2 shown]
	v_add_f64_e64 v[150:151], v[134:135], -v[110:111]
	v_add_f64_e64 v[146:147], v[132:133], -v[108:109]
	v_mul_f64_e32 v[138:139], s[10:11], v[144:145]
	v_mul_f64_e32 v[142:143], s[10:11], v[136:137]
	;; [unrolled: 1-line block ×4, first 2 shown]
	v_fma_f64 v[92:93], v[92:93], v[80:81], -v[128:129]
	v_fma_f64 v[114:115], v[94:95], v[80:81], v[130:131]
	v_fma_f64 v[94:95], v[96:97], v[76:77], -v[148:149]
	v_fma_f64 v[96:97], v[98:99], v[76:77], v[152:153]
	v_add_f64_e32 v[98:99], v[132:133], v[108:109]
	v_add_f64_e32 v[148:149], v[134:135], v[110:111]
	v_add_f64_e64 v[156:157], v[120:121], -v[104:105]
	v_add_f64_e64 v[166:167], v[122:123], -v[106:107]
	v_fma_f64 v[124:125], v[207:208], s[18:19], v[209:210]
	v_fma_f64 v[158:159], v[207:208], s[14:15], v[215:216]
	v_fma_f64 v[126:127], v[211:212], s[18:19], -v[213:214]
	v_fma_f64 v[160:161], v[211:212], s[14:15], -v[217:218]
	v_mul_f64_e32 v[152:153], s[24:25], v[150:151]
	v_mul_f64_e32 v[154:155], s[24:25], v[146:147]
	;; [unrolled: 1-line block ×4, first 2 shown]
	v_fma_f64 v[128:129], v[112:113], s[14:15], v[138:139]
	v_fma_f64 v[130:131], v[140:141], s[14:15], -v[142:143]
	v_fma_f64 v[171:172], v[112:113], s[20:21], v[181:182]
	v_fma_f64 v[173:174], v[140:141], s[20:21], -v[183:184]
	v_add_f64_e64 v[175:176], v[92:93], -v[94:95]
	v_add_f64_e64 v[185:186], v[114:115], -v[96:97]
	v_mul_f64_e32 v[164:165], s[22:23], v[156:157]
	v_mul_f64_e32 v[162:163], s[22:23], v[166:167]
	;; [unrolled: 1-line block ×4, first 2 shown]
	v_add_f64_e32 v[124:125], v[84:85], v[124:125]
	v_add_f64_e32 v[177:178], v[84:85], v[158:159]
	v_add_f64_e32 v[126:127], v[86:87], v[126:127]
	v_add_f64_e32 v[179:180], v[86:87], v[160:161]
	v_add_f64_e32 v[158:159], v[120:121], v[104:105]
	v_add_f64_e32 v[160:161], v[122:123], v[106:107]
	v_fma_f64 v[240:241], v[98:99], s[30:31], v[152:153]
	v_fma_f64 v[242:243], v[148:149], s[30:31], -v[154:155]
	v_fma_f64 v[244:245], v[98:99], s[26:27], v[187:188]
	v_fma_f64 v[246:247], v[148:149], s[26:27], -v[189:190]
	v_mul_f64_e32 v[203:204], s[36:37], v[175:176]
	v_mul_f64_e32 v[199:200], s[36:37], v[185:186]
	v_add_f64_e32 v[124:125], v[128:129], v[124:125]
	v_add_f64_e32 v[128:129], v[171:172], v[177:178]
	;; [unrolled: 1-line block ×6, first 2 shown]
	v_mul_f64_e32 v[173:174], s[34:35], v[185:186]
	v_mul_f64_e32 v[179:180], s[34:35], v[175:176]
	v_fma_f64 v[248:249], v[158:159], s[20:21], v[162:163]
	v_fma_f64 v[250:251], v[160:161], s[20:21], -v[164:165]
	v_fma_f64 v[252:253], v[158:159], s[30:31], v[195:196]
	v_fma_f64 v[254:255], v[160:161], s[30:31], -v[197:198]
	v_add_f64_e32 v[124:125], v[240:241], v[124:125]
	v_add_f64_e32 v[128:129], v[244:245], v[128:129]
	;; [unrolled: 1-line block ×4, first 2 shown]
	v_fma_f64 v[244:245], v[171:172], s[18:19], v[199:200]
	v_fma_f64 v[246:247], v[177:178], s[18:19], -v[203:204]
	v_fma_f64 v[240:241], v[171:172], s[26:27], v[173:174]
	v_fma_f64 v[242:243], v[177:178], s[26:27], -v[179:180]
	v_add_f64_e32 v[124:125], v[248:249], v[124:125]
	v_add_f64_e32 v[248:249], v[252:253], v[128:129]
	;; [unrolled: 1-line block ×4, first 2 shown]
	s_delay_alu instid0(VALU_DEP_4) | instskip(NEXT) | instid1(VALU_DEP_4)
	v_add_f64_e32 v[128:129], v[240:241], v[124:125]
	v_add_f64_e32 v[124:125], v[244:245], v[248:249]
	s_delay_alu instid0(VALU_DEP_4) | instskip(NEXT) | instid1(VALU_DEP_4)
	v_add_f64_e32 v[130:131], v[242:243], v[126:127]
	v_add_f64_e32 v[126:127], v[246:247], v[250:251]
	s_and_saveexec_b32 s33, s1
	s_cbranch_execz .LBB0_19
; %bb.18:
	v_mul_f64_e32 v[240:241], s[14:15], v[211:212]
	v_mul_f64_e32 v[244:245], s[20:21], v[211:212]
	;; [unrolled: 1-line block ×3, first 2 shown]
	s_mov_b32 s41, 0x3fe82f19
	s_mov_b32 s40, s22
	v_dual_mov_b32 v13, v4 :: v_dual_mov_b32 v4, v3
	v_dual_mov_b32 v3, v2 :: v_dual_mov_b32 v14, v5
	;; [unrolled: 1-line block ×5, first 2 shown]
	v_mov_b32_e32 v7, v230
	v_add_f64_e32 v[229:230], v[84:85], v[193:194]
	v_dual_mov_b32 v9, v232 :: v_dual_mov_b32 v12, v235
	v_dual_mov_b32 v10, v233 :: v_dual_mov_b32 v11, v234
	v_mov_b32_e32 v168, v223
	s_mov_b32 s43, 0x3fed1bb4
	s_mov_b32 s42, s10
	v_mov_b32_e32 v228, v225
	v_mov_b32_e32 v0, v224
	v_mul_f64_e32 v[223:224], s[30:31], v[177:178]
	v_mul_f64_e32 v[225:226], s[24:25], v[185:186]
	v_add_f64_e32 v[217:218], v[217:218], v[240:241]
	v_mul_f64_e32 v[240:241], s[14:15], v[207:208]
	v_fma_f64 v[246:247], v[205:206], s[40:41], v[244:245]
	v_fma_f64 v[244:245], v[205:206], s[22:23], v[244:245]
	;; [unrolled: 1-line block ×3, first 2 shown]
	v_add_f64_e32 v[217:218], v[86:87], v[217:218]
	v_add_f64_e64 v[215:216], v[240:241], -v[215:216]
	v_mul_f64_e32 v[240:241], s[26:27], v[211:212]
	v_mul_f64_e32 v[211:212], s[18:19], v[211:212]
	v_add_f64_e32 v[244:245], v[86:87], v[244:245]
	s_delay_alu instid0(VALU_DEP_4) | instskip(NEXT) | instid1(VALU_DEP_4)
	v_add_f64_e32 v[215:216], v[84:85], v[215:216]
	v_fma_f64 v[242:243], v[205:206], s[28:29], v[240:241]
	v_fma_f64 v[240:241], v[205:206], s[34:35], v[240:241]
	v_fma_f64 v[205:206], v[205:206], s[38:39], v[248:249]
	v_add_f64_e32 v[211:212], v[213:214], v[211:212]
	v_mul_f64_e32 v[213:214], s[34:35], v[201:202]
	v_mul_f64_e32 v[248:249], s[22:23], v[201:202]
	;; [unrolled: 1-line block ×3, first 2 shown]
	v_add_f64_e32 v[240:241], v[86:87], v[240:241]
	v_add_f64_e32 v[205:206], v[86:87], v[205:206]
	;; [unrolled: 1-line block ×3, first 2 shown]
	v_fma_f64 v[252:253], v[207:208], s[26:27], v[213:214]
	v_fma_f64 v[213:214], v[207:208], s[26:27], -v[213:214]
	v_fma_f64 v[254:255], v[207:208], s[20:21], -v[248:249]
	v_fma_f64 v[248:249], v[207:208], s[20:21], v[248:249]
	v_fma_f64 v[221:222], v[207:208], s[30:31], -v[201:202]
	v_fma_f64 v[201:202], v[207:208], s[30:31], v[201:202]
	v_mul_f64_e32 v[207:208], s[18:19], v[207:208]
	v_add_f64_e32 v[193:194], v[84:85], v[252:253]
	v_add_f64_e32 v[213:214], v[84:85], v[213:214]
	;; [unrolled: 1-line block ×5, first 2 shown]
	v_add_f64_e64 v[207:208], v[207:208], -v[209:210]
	v_mul_f64_e32 v[201:202], s[18:19], v[140:141]
	v_add_f64_e32 v[209:210], v[86:87], v[191:192]
	v_add_f64_e32 v[191:192], v[86:87], v[242:243]
	v_add_f64_e32 v[242:243], v[86:87], v[246:247]
	v_add_f64_e32 v[246:247], v[86:87], v[250:251]
	v_add_f64_e32 v[250:251], v[84:85], v[254:255]
	v_add_f64_e32 v[207:208], v[84:85], v[207:208]
	v_fma_f64 v[84:85], v[136:137], s[12:13], v[201:202]
	v_fma_f64 v[201:202], v[136:137], s[36:37], v[201:202]
	s_delay_alu instid0(VALU_DEP_2) | instskip(SKIP_1) | instid1(VALU_DEP_3)
	v_add_f64_e32 v[84:85], v[84:85], v[191:192]
	v_mul_f64_e32 v[191:192], s[36:37], v[144:145]
	v_add_f64_e32 v[201:202], v[201:202], v[240:241]
	v_mul_f64_e32 v[240:241], s[14:15], v[177:178]
	s_delay_alu instid0(VALU_DEP_3) | instskip(SKIP_1) | instid1(VALU_DEP_2)
	v_fma_f64 v[86:87], v[112:113], s[18:19], v[191:192]
	v_fma_f64 v[191:192], v[112:113], s[18:19], -v[191:192]
	v_add_f64_e32 v[86:87], v[86:87], v[193:194]
	v_mul_f64_e32 v[193:194], s[20:21], v[148:149]
	s_delay_alu instid0(VALU_DEP_3) | instskip(SKIP_1) | instid1(VALU_DEP_3)
	v_add_f64_e32 v[191:192], v[191:192], v[213:214]
	v_fma_f64 v[213:214], v[171:172], s[30:31], -v[225:226]
	v_fma_f64 v[254:255], v[146:147], s[40:41], v[193:194]
	v_fma_f64 v[193:194], v[146:147], s[22:23], v[193:194]
	s_delay_alu instid0(VALU_DEP_2) | instskip(SKIP_1) | instid1(VALU_DEP_3)
	v_add_f64_e32 v[84:85], v[254:255], v[84:85]
	v_mul_f64_e32 v[254:255], s[22:23], v[150:151]
	v_add_f64_e32 v[193:194], v[193:194], v[201:202]
	s_delay_alu instid0(VALU_DEP_2) | instskip(SKIP_1) | instid1(VALU_DEP_2)
	v_fma_f64 v[231:232], v[98:99], s[20:21], v[254:255]
	v_fma_f64 v[201:202], v[98:99], s[20:21], -v[254:255]
	v_add_f64_e32 v[86:87], v[231:232], v[86:87]
	v_mul_f64_e32 v[231:232], s[14:15], v[160:161]
	s_delay_alu instid0(VALU_DEP_3) | instskip(NEXT) | instid1(VALU_DEP_2)
	v_add_f64_e32 v[191:192], v[201:202], v[191:192]
	v_fma_f64 v[233:234], v[156:157], s[10:11], v[231:232]
	v_fma_f64 v[201:202], v[156:157], s[42:43], v[231:232]
	v_mul_f64_e32 v[231:232], s[22:23], v[185:186]
	v_mul_f64_e32 v[185:186], s[42:43], v[185:186]
	s_delay_alu instid0(VALU_DEP_4) | instskip(SKIP_2) | instid1(VALU_DEP_2)
	v_add_f64_e32 v[84:85], v[233:234], v[84:85]
	v_mul_f64_e32 v[233:234], s[42:43], v[166:167]
	v_add_f64_e32 v[193:194], v[201:202], v[193:194]
	v_fma_f64 v[201:202], v[158:159], s[14:15], -v[233:234]
	v_fma_f64 v[235:236], v[158:159], s[14:15], v[233:234]
	s_delay_alu instid0(VALU_DEP_2) | instskip(SKIP_1) | instid1(VALU_DEP_3)
	v_add_f64_e32 v[191:192], v[201:202], v[191:192]
	v_fma_f64 v[201:202], v[175:176], s[24:25], v[223:224]
	v_add_f64_e32 v[235:236], v[235:236], v[86:87]
	v_fma_f64 v[86:87], v[175:176], s[38:39], v[223:224]
	v_mul_f64_e32 v[223:224], s[12:13], v[166:167]
	v_mul_f64_e32 v[166:167], s[34:35], v[166:167]
	v_add_f64_e32 v[191:192], v[213:214], v[191:192]
	v_add_f64_e32 v[193:194], v[201:202], v[193:194]
	v_mul_f64_e32 v[201:202], s[20:21], v[140:141]
	v_mul_f64_e32 v[213:214], s[28:29], v[144:145]
	v_add_f64_e32 v[86:87], v[86:87], v[84:85]
	v_fma_f64 v[84:85], v[171:172], s[30:31], v[225:226]
	v_mul_f64_e32 v[225:226], s[20:21], v[177:178]
	v_mul_f64_e32 v[144:145], s[38:39], v[144:145]
	v_add_f64_e32 v[183:184], v[183:184], v[201:202]
	v_mul_f64_e32 v[201:202], s[20:21], v[112:113]
	v_add_f64_e32 v[84:85], v[84:85], v[235:236]
	s_delay_alu instid0(VALU_DEP_3) | instskip(NEXT) | instid1(VALU_DEP_3)
	v_add_f64_e32 v[183:184], v[183:184], v[217:218]
	v_add_f64_e64 v[181:182], v[201:202], -v[181:182]
	v_mul_f64_e32 v[201:202], s[26:27], v[148:149]
	v_mul_f64_e32 v[217:218], s[42:43], v[150:151]
	;; [unrolled: 1-line block ×3, first 2 shown]
	s_delay_alu instid0(VALU_DEP_4) | instskip(NEXT) | instid1(VALU_DEP_4)
	v_add_f64_e32 v[181:182], v[181:182], v[215:216]
	v_add_f64_e32 v[189:190], v[189:190], v[201:202]
	v_mul_f64_e32 v[201:202], s[26:27], v[98:99]
	v_mul_f64_e32 v[215:216], s[14:15], v[148:149]
	s_delay_alu instid0(VALU_DEP_3) | instskip(NEXT) | instid1(VALU_DEP_3)
	v_add_f64_e32 v[183:184], v[189:190], v[183:184]
	v_add_f64_e64 v[187:188], v[201:202], -v[187:188]
	v_mul_f64_e32 v[201:202], s[30:31], v[160:161]
	v_fma_f64 v[189:190], v[112:113], s[26:27], -v[213:214]
	s_delay_alu instid0(VALU_DEP_3) | instskip(NEXT) | instid1(VALU_DEP_3)
	v_add_f64_e32 v[181:182], v[187:188], v[181:182]
	v_add_f64_e32 v[197:198], v[197:198], v[201:202]
	v_mul_f64_e32 v[201:202], s[30:31], v[158:159]
	v_mul_f64_e32 v[187:188], s[18:19], v[171:172]
	v_add_f64_e32 v[189:190], v[189:190], v[221:222]
	v_mul_f64_e32 v[221:222], s[18:19], v[160:161]
	v_add_f64_e32 v[183:184], v[197:198], v[183:184]
	v_add_f64_e64 v[195:196], v[201:202], -v[195:196]
	v_mul_f64_e32 v[201:202], s[18:19], v[177:178]
	v_add_f64_e64 v[187:188], v[187:188], -v[199:200]
	v_mul_f64_e32 v[199:200], s[30:31], v[140:141]
	v_fma_f64 v[197:198], v[112:113], s[30:31], -v[144:145]
	v_fma_f64 v[144:145], v[112:113], s[30:31], v[144:145]
	v_add_f64_e32 v[181:182], v[195:196], v[181:182]
	v_add_f64_e32 v[201:202], v[203:204], v[201:202]
	v_mul_f64_e32 v[203:204], s[26:27], v[140:141]
	v_fma_f64 v[195:196], v[146:147], s[42:43], v[215:216]
	v_add_f64_e32 v[197:198], v[197:198], v[250:251]
	v_add_f64_e32 v[144:145], v[144:145], v[248:249]
	;; [unrolled: 1-line block ×4, first 2 shown]
	v_fma_f64 v[187:188], v[136:137], s[28:29], v[203:204]
	v_mul_f64_e32 v[201:202], s[18:19], v[148:149]
	s_delay_alu instid0(VALU_DEP_2) | instskip(NEXT) | instid1(VALU_DEP_2)
	v_add_f64_e32 v[187:188], v[187:188], v[246:247]
	v_fma_f64 v[233:234], v[146:147], s[12:13], v[201:202]
	v_fma_f64 v[201:202], v[146:147], s[36:37], v[201:202]
	s_delay_alu instid0(VALU_DEP_3) | instskip(SKIP_1) | instid1(VALU_DEP_1)
	v_add_f64_e32 v[187:188], v[195:196], v[187:188]
	v_fma_f64 v[195:196], v[98:99], s[14:15], -v[217:218]
	v_add_f64_e32 v[189:190], v[195:196], v[189:190]
	v_fma_f64 v[195:196], v[156:157], s[12:13], v[221:222]
	s_delay_alu instid0(VALU_DEP_1) | instskip(SKIP_1) | instid1(VALU_DEP_1)
	v_add_f64_e32 v[187:188], v[195:196], v[187:188]
	v_fma_f64 v[195:196], v[158:159], s[18:19], -v[223:224]
	v_add_f64_e32 v[195:196], v[195:196], v[189:190]
	v_fma_f64 v[189:190], v[175:176], s[22:23], v[225:226]
	s_delay_alu instid0(VALU_DEP_1) | instskip(SKIP_1) | instid1(VALU_DEP_1)
	v_add_f64_e32 v[189:190], v[189:190], v[187:188]
	v_fma_f64 v[187:188], v[171:172], s[20:21], -v[231:232]
	v_add_f64_e32 v[187:188], v[187:188], v[195:196]
	v_fma_f64 v[195:196], v[136:137], s[38:39], v[199:200]
	v_fma_f64 v[199:200], v[136:137], s[24:25], v[199:200]
	;; [unrolled: 1-line block ×3, first 2 shown]
	s_delay_alu instid0(VALU_DEP_3) | instskip(NEXT) | instid1(VALU_DEP_3)
	v_add_f64_e32 v[195:196], v[195:196], v[244:245]
	v_add_f64_e32 v[199:200], v[199:200], v[242:243]
	s_delay_alu instid0(VALU_DEP_3) | instskip(NEXT) | instid1(VALU_DEP_3)
	v_add_f64_e32 v[136:137], v[136:137], v[205:206]
	v_add_f64_e32 v[195:196], v[233:234], v[195:196]
	v_fma_f64 v[233:234], v[98:99], s[18:19], -v[150:151]
	v_fma_f64 v[150:151], v[98:99], s[18:19], v[150:151]
	v_add_f64_e32 v[199:200], v[201:202], v[199:200]
	s_delay_alu instid0(VALU_DEP_3) | instskip(SKIP_1) | instid1(VALU_DEP_4)
	v_add_f64_e32 v[197:198], v[233:234], v[197:198]
	v_mul_f64_e32 v[233:234], s[26:27], v[160:161]
	v_add_f64_e32 v[144:145], v[150:151], v[144:145]
	s_delay_alu instid0(VALU_DEP_2) | instskip(SKIP_1) | instid1(VALU_DEP_2)
	v_fma_f64 v[235:236], v[156:157], s[34:35], v[233:234]
	v_fma_f64 v[150:151], v[156:157], s[28:29], v[233:234]
	v_add_f64_e32 v[195:196], v[235:236], v[195:196]
	v_fma_f64 v[235:236], v[158:159], s[26:27], -v[166:167]
	v_fma_f64 v[166:167], v[158:159], s[26:27], v[166:167]
	s_delay_alu instid0(VALU_DEP_4) | instskip(NEXT) | instid1(VALU_DEP_3)
	v_add_f64_e32 v[150:151], v[150:151], v[199:200]
	v_add_f64_e32 v[235:236], v[235:236], v[197:198]
	v_fma_f64 v[197:198], v[175:176], s[42:43], v[240:241]
	s_delay_alu instid0(VALU_DEP_4) | instskip(SKIP_1) | instid1(VALU_DEP_3)
	v_add_f64_e32 v[144:145], v[166:167], v[144:145]
	v_fma_f64 v[166:167], v[175:176], s[10:11], v[240:241]
	v_add_f64_e32 v[197:198], v[197:198], v[195:196]
	v_fma_f64 v[195:196], v[171:172], s[14:15], -v[185:186]
	v_fma_f64 v[185:186], v[171:172], s[14:15], v[185:186]
	s_delay_alu instid0(VALU_DEP_4) | instskip(SKIP_1) | instid1(VALU_DEP_4)
	v_add_f64_e32 v[201:202], v[166:167], v[150:151]
	v_fma_f64 v[150:151], v[175:176], s[40:41], v[225:226]
	v_add_f64_e32 v[195:196], v[195:196], v[235:236]
	s_delay_alu instid0(VALU_DEP_4) | instskip(SKIP_4) | instid1(VALU_DEP_4)
	v_add_f64_e32 v[199:200], v[185:186], v[144:145]
	v_fma_f64 v[144:145], v[146:147], s[10:11], v[215:216]
	v_fma_f64 v[146:147], v[156:157], s[36:37], v[221:222]
	;; [unrolled: 1-line block ×3, first 2 shown]
	v_mul_f64_e32 v[112:113], s[14:15], v[112:113]
	v_add_f64_e32 v[136:137], v[144:145], v[136:137]
	v_fma_f64 v[144:145], v[98:99], s[14:15], v[217:218]
	s_delay_alu instid0(VALU_DEP_4) | instskip(NEXT) | instid1(VALU_DEP_4)
	v_add_f64_e32 v[156:157], v[156:157], v[252:253]
	v_add_f64_e64 v[112:113], v[112:113], -v[138:139]
	v_mul_f64_e32 v[138:139], s[30:31], v[148:149]
	v_mul_f64_e32 v[98:99], s[30:31], v[98:99]
	;; [unrolled: 1-line block ×3, first 2 shown]
	v_add_f64_e32 v[136:137], v[146:147], v[136:137]
	v_fma_f64 v[146:147], v[158:159], s[18:19], v[223:224]
	v_add_f64_e32 v[144:145], v[144:145], v[156:157]
	v_add_f64_e32 v[112:113], v[112:113], v[207:208]
	;; [unrolled: 1-line block ×3, first 2 shown]
	v_add_f64_e64 v[98:99], v[98:99], -v[152:153]
	v_add_f64_e32 v[148:149], v[179:180], v[148:149]
	v_fma_f64 v[156:157], v[171:172], s[20:21], v[231:232]
	v_mov_b32_e32 v223, v168
	v_dual_mov_b32 v225, v228 :: v_dual_mov_b32 v224, v0
	v_dual_mov_b32 v235, v12 :: v_dual_mov_b32 v232, v9
	v_mov_b32_e32 v0, v1
	v_dual_mov_b32 v234, v11 :: v_dual_mov_b32 v233, v10
	v_mov_b32_e32 v1, v2
	v_mov_b32_e32 v2, v3
	v_dual_mov_b32 v3, v4 :: v_dual_mov_b32 v4, v13
	v_add_f64_e32 v[144:145], v[146:147], v[144:145]
	v_add_f64_e32 v[146:147], v[150:151], v[136:137]
	v_mul_f64_e32 v[136:137], s[14:15], v[140:141]
	v_mul_f64_e32 v[140:141], s[20:21], v[160:161]
	v_add_f64_e32 v[98:99], v[98:99], v[112:113]
	v_mul_f64_e32 v[112:113], s[26:27], v[171:172]
	v_add_f64_e32 v[144:145], v[156:157], v[144:145]
	v_add_f64_e32 v[136:137], v[142:143], v[136:137]
	v_mul_f64_e32 v[142:143], s[20:21], v[158:159]
	v_add_f64_e32 v[140:141], v[164:165], v[140:141]
	v_add_f64_e64 v[112:113], v[112:113], -v[173:174]
	s_delay_alu instid0(VALU_DEP_4) | instskip(NEXT) | instid1(VALU_DEP_4)
	v_add_f64_e32 v[136:137], v[136:137], v[211:212]
	v_add_f64_e64 v[142:143], v[142:143], -v[162:163]
	s_delay_alu instid0(VALU_DEP_2) | instskip(NEXT) | instid1(VALU_DEP_2)
	v_add_f64_e32 v[136:137], v[138:139], v[136:137]
	v_add_f64_e32 v[98:99], v[142:143], v[98:99]
	s_delay_alu instid0(VALU_DEP_2) | instskip(NEXT) | instid1(VALU_DEP_1)
	v_add_f64_e32 v[136:137], v[140:141], v[136:137]
	v_add_f64_e32 v[138:139], v[148:149], v[136:137]
	s_delay_alu instid0(VALU_DEP_3)
	v_add_f64_e32 v[136:137], v[112:113], v[98:99]
	v_add_f64_e32 v[98:99], v[209:210], v[118:119]
	;; [unrolled: 1-line block ×3, first 2 shown]
	v_dual_mov_b32 v231, v8 :: v_dual_mov_b32 v230, v7
	v_dual_mov_b32 v229, v6 :: v_dual_mov_b32 v228, v5
	;; [unrolled: 1-line block ×3, first 2 shown]
	v_add_f64_e32 v[98:99], v[98:99], v[134:135]
	v_add_f64_e32 v[112:113], v[112:113], v[132:133]
	s_delay_alu instid0(VALU_DEP_2) | instskip(NEXT) | instid1(VALU_DEP_2)
	v_add_f64_e32 v[98:99], v[98:99], v[122:123]
	v_add_f64_e32 v[112:113], v[112:113], v[120:121]
	s_delay_alu instid0(VALU_DEP_2) | instskip(NEXT) | instid1(VALU_DEP_2)
	;; [unrolled: 3-line block ×7, first 2 shown]
	v_add_f64_e32 v[90:91], v[94:95], v[90:91]
	v_add_f64_e32 v[88:89], v[92:93], v[88:89]
	v_mul_u32_u24_e32 v92, 0xb0, v224
	s_delay_alu instid0(VALU_DEP_1) | instskip(NEXT) | instid1(VALU_DEP_1)
	v_or_b32_e32 v92, v92, v238
	v_lshlrev_b32_e32 v92, 4, v92
	ds_store_b128 v92, v[181:184] offset:512
	ds_store_b128 v92, v[187:190] offset:768
	;; [unrolled: 1-line block ×9, first 2 shown]
	ds_store_b128 v92, v[88:91]
	ds_store_b128 v92, v[128:131] offset:2560
.LBB0_19:
	s_or_b32 exec_lo, exec_lo, s33
	v_and_b32_e32 v84, 0xffff, v237
	v_lshlrev_b32_e32 v180, 4, v25
	global_wb scope:SCOPE_SE
	s_wait_dscnt 0x0
	s_barrier_signal -1
	s_barrier_wait -1
	v_mul_u32_u24_e32 v84, 0xba2f, v84
	global_inv scope:SCOPE_SE
	s_mov_b32 s13, 0xbfebb67a
	v_lshrrev_b32_e32 v84, 23, v84
	s_delay_alu instid0(VALU_DEP_1) | instskip(NEXT) | instid1(VALU_DEP_1)
	v_mul_lo_u16 v84, 0xb0, v84
	v_sub_nc_u16 v179, v237, v84
	s_delay_alu instid0(VALU_DEP_1) | instskip(NEXT) | instid1(VALU_DEP_1)
	v_lshlrev_b16 v84, 5, v179
	v_and_b32_e32 v92, 0xffff, v84
	s_clause 0x1
	global_load_b128 v[84:87], v180, s[2:3] offset:2768
	global_load_b128 v[88:91], v180, s[2:3] offset:2752
	v_add_co_u32 v92, s10, s2, v92
	s_wait_alu 0xf1ff
	v_add_co_ci_u32_e64 v93, null, s3, 0, s10
	s_mov_b32 s10, 0xe8584caa
	s_mov_b32 s11, 0x3febb67a
	s_wait_alu 0xfffe
	s_mov_b32 s12, s10
	s_clause 0x1
	global_load_b128 v[96:99], v[92:93], off offset:2752
	global_load_b128 v[92:95], v[92:93], off offset:2768
	ds_load_b128 v[100:103], v219 offset:8448
	ds_load_b128 v[104:107], v219 offset:16896
	;; [unrolled: 1-line block ×7, first 2 shown]
	s_wait_loadcnt_dscnt 0x305
	v_mul_f64_e32 v[138:139], v[106:107], v[86:87]
	s_wait_loadcnt 0x2
	v_mul_f64_e32 v[136:137], v[102:103], v[90:91]
	v_mul_f64_e32 v[140:141], v[100:101], v[90:91]
	;; [unrolled: 1-line block ×3, first 2 shown]
	s_wait_dscnt 0x4
	v_mul_f64_e32 v[144:145], v[110:111], v[90:91]
	s_wait_dscnt 0x3
	v_mul_f64_e32 v[146:147], v[114:115], v[86:87]
	v_mul_f64_e32 v[148:149], v[108:109], v[90:91]
	v_mul_f64_e32 v[150:151], v[112:113], v[86:87]
	s_wait_loadcnt_dscnt 0x102
	v_mul_f64_e32 v[152:153], v[118:119], v[98:99]
	s_wait_loadcnt_dscnt 0x1
	v_mul_f64_e32 v[154:155], v[122:123], v[94:95]
	v_mul_f64_e32 v[156:157], v[116:117], v[98:99]
	v_mul_f64_e32 v[158:159], v[120:121], v[94:95]
	v_fma_f64 v[138:139], v[104:105], v[84:85], -v[138:139]
	v_fma_f64 v[136:137], v[100:101], v[88:89], -v[136:137]
	v_fma_f64 v[140:141], v[102:103], v[88:89], v[140:141]
	v_fma_f64 v[142:143], v[106:107], v[84:85], v[142:143]
	v_fma_f64 v[108:109], v[108:109], v[88:89], -v[144:145]
	v_fma_f64 v[112:113], v[112:113], v[84:85], -v[146:147]
	v_fma_f64 v[110:111], v[110:111], v[88:89], v[148:149]
	v_fma_f64 v[114:115], v[114:115], v[84:85], v[150:151]
	ds_load_b128 v[100:103], v219
	ds_load_b128 v[104:107], v219 offset:2816
	global_wb scope:SCOPE_SE
	s_wait_dscnt 0x0
	s_barrier_signal -1
	v_fma_f64 v[116:117], v[116:117], v[96:97], -v[152:153]
	v_fma_f64 v[120:121], v[120:121], v[92:93], -v[154:155]
	v_fma_f64 v[118:119], v[118:119], v[96:97], v[156:157]
	v_fma_f64 v[122:123], v[122:123], v[92:93], v[158:159]
	s_barrier_wait -1
	global_inv scope:SCOPE_SE
	v_add_f64_e32 v[144:145], v[136:137], v[138:139]
	v_add_f64_e32 v[156:157], v[100:101], v[136:137]
	;; [unrolled: 1-line block ×3, first 2 shown]
	v_add_f64_e64 v[158:159], v[140:141], -v[142:143]
	v_add_f64_e32 v[148:149], v[108:109], v[112:113]
	v_add_f64_e32 v[140:141], v[102:103], v[140:141]
	;; [unrolled: 1-line block ×5, first 2 shown]
	v_add_f64_e64 v[136:137], v[136:137], -v[138:139]
	v_add_f64_e32 v[164:165], v[132:133], v[116:117]
	v_add_f64_e32 v[152:153], v[116:117], v[120:121]
	;; [unrolled: 1-line block ×4, first 2 shown]
	v_add_f64_e64 v[171:172], v[110:111], -v[114:115]
	v_add_f64_e64 v[173:174], v[108:109], -v[112:113]
	;; [unrolled: 1-line block ×4, first 2 shown]
	v_fma_f64 v[144:145], v[144:145], -0.5, v[100:101]
	v_add_f64_e32 v[100:101], v[156:157], v[138:139]
	v_fma_f64 v[146:147], v[146:147], -0.5, v[102:103]
	v_fma_f64 v[148:149], v[148:149], -0.5, v[104:105]
	v_add_f64_e32 v[102:103], v[140:141], v[142:143]
	v_fma_f64 v[150:151], v[150:151], -0.5, v[106:107]
	v_add_f64_e32 v[104:105], v[160:161], v[112:113]
	v_add_f64_e32 v[106:107], v[162:163], v[114:115]
	;; [unrolled: 1-line block ×3, first 2 shown]
	v_fma_f64 v[152:153], v[152:153], -0.5, v[132:133]
	v_add_f64_e32 v[110:111], v[166:167], v[122:123]
	v_fma_f64 v[154:155], v[154:155], -0.5, v[134:135]
	v_fma_f64 v[112:113], v[158:159], s[10:11], v[144:145]
	s_wait_alu 0xfffe
	v_fma_f64 v[116:117], v[158:159], s[12:13], v[144:145]
	v_fma_f64 v[114:115], v[136:137], s[12:13], v[146:147]
	;; [unrolled: 1-line block ×7, first 2 shown]
	v_and_b32_e32 v144, 0xffff, v179
	v_lshlrev_b32_e32 v145, 4, v21
	v_fma_f64 v[136:137], v[175:176], s[10:11], v[152:153]
	v_fma_f64 v[140:141], v[175:176], s[12:13], v[152:153]
	;; [unrolled: 1-line block ×4, first 2 shown]
	v_lshlrev_b32_e32 v171, 4, v144
	ds_store_b128 v219, v[100:103]
	ds_store_b128 v219, v[112:115] offset:2816
	ds_store_b128 v219, v[116:119] offset:5632
	ds_store_b128 v219, v[104:107] offset:8448
	ds_store_b128 v219, v[120:123] offset:11264
	ds_store_b128 v219, v[132:135] offset:14080
	ds_store_b128 v171, v[108:111] offset:16896
	ds_store_b128 v171, v[136:139] offset:19712
	ds_store_b128 v171, v[140:143] offset:22528
	global_wb scope:SCOPE_SE
	s_wait_dscnt 0x0
	s_barrier_signal -1
	s_barrier_wait -1
	global_inv scope:SCOPE_SE
	s_clause 0x1
	global_load_b128 v[104:107], v180, s[2:3] offset:8384
	global_load_b128 v[100:103], v180, s[2:3] offset:8400
	v_lshlrev_b32_e32 v116, 5, v237
	s_clause 0x3
	global_load_b128 v[112:115], v145, s[2:3] offset:8384
	global_load_b128 v[108:111], v145, s[2:3] offset:8400
	;; [unrolled: 1-line block ×4, first 2 shown]
	ds_load_b128 v[132:135], v219 offset:8448
	ds_load_b128 v[136:139], v219 offset:16896
	;; [unrolled: 1-line block ×7, first 2 shown]
	s_add_nc_u64 s[2:3], s[16:17], 0x6300
	s_wait_loadcnt_dscnt 0x506
	v_mul_f64_e32 v[160:161], v[134:135], v[106:107]
	s_wait_loadcnt_dscnt 0x405
	v_mul_f64_e32 v[162:163], v[138:139], v[102:103]
	v_mul_f64_e32 v[164:165], v[132:133], v[106:107]
	v_mul_f64_e32 v[166:167], v[136:137], v[102:103]
	s_wait_loadcnt_dscnt 0x304
	v_mul_f64_e32 v[172:173], v[142:143], v[114:115]
	s_wait_loadcnt_dscnt 0x203
	v_mul_f64_e32 v[174:175], v[146:147], v[110:111]
	v_mul_f64_e32 v[176:177], v[140:141], v[114:115]
	v_mul_f64_e32 v[178:179], v[144:145], v[110:111]
	;; [unrolled: 6-line block ×3, first 2 shown]
	v_fma_f64 v[160:161], v[132:133], v[104:105], -v[160:161]
	v_fma_f64 v[162:163], v[136:137], v[100:101], -v[162:163]
	v_fma_f64 v[164:165], v[134:135], v[104:105], v[164:165]
	v_fma_f64 v[166:167], v[138:139], v[100:101], v[166:167]
	v_fma_f64 v[140:141], v[140:141], v[112:113], -v[172:173]
	v_fma_f64 v[144:145], v[144:145], v[108:109], -v[174:175]
	v_fma_f64 v[142:143], v[142:143], v[112:113], v[176:177]
	v_fma_f64 v[146:147], v[146:147], v[108:109], v[178:179]
	v_fma_f64 v[148:149], v[148:149], v[120:121], -v[180:181]
	v_fma_f64 v[152:153], v[152:153], v[116:117], -v[182:183]
	v_fma_f64 v[150:151], v[150:151], v[120:121], v[184:185]
	v_fma_f64 v[154:155], v[154:155], v[116:117], v[186:187]
	ds_load_b128 v[132:135], v219
	ds_load_b128 v[136:139], v219 offset:2816
	s_wait_dscnt 0x1
	v_add_f64_e32 v[184:185], v[132:133], v[160:161]
	v_add_f64_e32 v[172:173], v[160:161], v[162:163]
	v_add_f64_e64 v[160:161], v[160:161], -v[162:163]
	v_add_f64_e32 v[174:175], v[164:165], v[166:167]
	v_add_f64_e64 v[186:187], v[164:165], -v[166:167]
	v_add_f64_e32 v[176:177], v[140:141], v[144:145]
	v_add_f64_e32 v[164:165], v[134:135], v[164:165]
	;; [unrolled: 1-line block ×3, first 2 shown]
	s_wait_dscnt 0x0
	v_add_f64_e32 v[188:189], v[136:137], v[140:141]
	v_add_f64_e32 v[180:181], v[148:149], v[152:153]
	;; [unrolled: 1-line block ×6, first 2 shown]
	v_add_f64_e64 v[196:197], v[150:151], -v[154:155]
	v_add_f64_e64 v[198:199], v[148:149], -v[152:153]
	v_fma_f64 v[132:133], v[172:173], -0.5, v[132:133]
	v_add_f64_e64 v[172:173], v[142:143], -v[146:147]
	v_fma_f64 v[134:135], v[174:175], -0.5, v[134:135]
	v_fma_f64 v[174:175], v[176:177], -0.5, v[136:137]
	v_add_f64_e64 v[176:177], v[140:141], -v[144:145]
	v_fma_f64 v[178:179], v[178:179], -0.5, v[138:139]
	v_add_f64_e32 v[136:137], v[184:185], v[162:163]
	v_fma_f64 v[180:181], v[180:181], -0.5, v[156:157]
	v_add_f64_e32 v[138:139], v[164:165], v[166:167]
	;; [unrolled: 2-line block ×3, first 2 shown]
	v_add_f64_e32 v[142:143], v[190:191], v[146:147]
	v_add_f64_e32 v[144:145], v[192:193], v[152:153]
	;; [unrolled: 1-line block ×3, first 2 shown]
	v_fma_f64 v[152:153], v[186:187], s[12:13], v[132:133]
	v_fma_f64 v[148:149], v[186:187], s[10:11], v[132:133]
	;; [unrolled: 1-line block ×12, first 2 shown]
	ds_store_b128 v219, v[136:139]
	ds_store_b128 v219, v[140:143] offset:2816
	ds_store_b128 v219, v[152:155] offset:16896
	;; [unrolled: 1-line block ×8, first 2 shown]
	global_wb scope:SCOPE_SE
	s_wait_dscnt 0x0
	s_barrier_signal -1
	s_barrier_wait -1
	global_inv scope:SCOPE_SE
	s_clause 0x7
	global_load_b128 v[136:139], v[169:170], off offset:25344
	global_load_b128 v[140:143], v219, s[2:3] offset:6336
	global_load_b128 v[144:147], v219, s[2:3] offset:12672
	;; [unrolled: 1-line block ×7, first 2 shown]
	ds_load_b128 v[172:175], v219
	ds_load_b128 v[176:179], v219 offset:6336
	ds_load_b128 v[180:183], v219 offset:12672
	;; [unrolled: 1-line block ×7, first 2 shown]
	s_wait_loadcnt_dscnt 0x707
	v_mul_f64_e32 v[204:205], v[174:175], v[138:139]
	v_mul_f64_e32 v[138:139], v[172:173], v[138:139]
	s_wait_loadcnt_dscnt 0x606
	v_mul_f64_e32 v[206:207], v[178:179], v[142:143]
	v_mul_f64_e32 v[142:143], v[176:177], v[142:143]
	;; [unrolled: 3-line block ×8, first 2 shown]
	v_fma_f64 v[172:173], v[172:173], v[136:137], -v[204:205]
	v_fma_f64 v[174:175], v[174:175], v[136:137], v[138:139]
	v_fma_f64 v[136:137], v[176:177], v[140:141], -v[206:207]
	v_fma_f64 v[138:139], v[178:179], v[140:141], v[142:143]
	;; [unrolled: 2-line block ×8, first 2 shown]
	ds_store_b128 v219, v[172:175]
	ds_store_b128 v219, v[148:151] offset:2816
	ds_store_b128 v219, v[136:139] offset:6336
	ds_store_b128 v219, v[152:155] offset:9152
	ds_store_b128 v219, v[140:143] offset:12672
	ds_store_b128 v219, v[156:159] offset:15488
	ds_store_b128 v219, v[144:147] offset:19008
	ds_store_b128 v219, v[160:163] offset:21824
	s_and_saveexec_b32 s10, vcc_lo
	s_cbranch_execz .LBB0_21
; %bb.20:
	s_wait_alu 0xfffe
	v_add_co_u32 v148, s2, s2, v219
	s_wait_alu 0xf1ff
	v_add_co_ci_u32_e64 v149, null, s3, 0, s2
	s_clause 0x3
	global_load_b128 v[136:139], v[148:149], off offset:5632
	global_load_b128 v[140:143], v[148:149], off offset:11968
	;; [unrolled: 1-line block ×4, first 2 shown]
	ds_load_b128 v[152:155], v219 offset:5632
	ds_load_b128 v[156:159], v219 offset:11968
	;; [unrolled: 1-line block ×4, first 2 shown]
	s_wait_loadcnt_dscnt 0x303
	v_mul_f64_e32 v[172:173], v[154:155], v[138:139]
	v_mul_f64_e32 v[138:139], v[152:153], v[138:139]
	s_wait_loadcnt_dscnt 0x202
	v_mul_f64_e32 v[174:175], v[158:159], v[142:143]
	v_mul_f64_e32 v[142:143], v[156:157], v[142:143]
	;; [unrolled: 3-line block ×4, first 2 shown]
	v_fma_f64 v[150:151], v[152:153], v[136:137], -v[172:173]
	v_fma_f64 v[152:153], v[154:155], v[136:137], v[138:139]
	v_fma_f64 v[136:137], v[156:157], v[140:141], -v[174:175]
	v_fma_f64 v[138:139], v[158:159], v[140:141], v[142:143]
	;; [unrolled: 2-line block ×4, first 2 shown]
	ds_store_b128 v219, v[150:153] offset:5632
	ds_store_b128 v219, v[136:139] offset:11968
	;; [unrolled: 1-line block ×4, first 2 shown]
.LBB0_21:
	s_wait_alu 0xfffe
	s_or_b32 exec_lo, exec_lo, s10
	global_wb scope:SCOPE_SE
	s_wait_dscnt 0x0
	s_barrier_signal -1
	s_barrier_wait -1
	global_inv scope:SCOPE_SE
	ds_load_b128 v[136:139], v219
	ds_load_b128 v[140:143], v219 offset:2816
	ds_load_b128 v[148:151], v219 offset:6336
	;; [unrolled: 1-line block ×7, first 2 shown]
	s_and_saveexec_b32 s2, vcc_lo
	s_cbranch_execz .LBB0_23
; %bb.22:
	ds_load_b128 v[132:135], v219 offset:5632
	ds_load_b128 v[124:127], v219 offset:11968
	ds_load_b128 v[128:131], v219 offset:18304
	ds_load_b128 v[64:67], v219 offset:24640
.LBB0_23:
	s_wait_alu 0xfffe
	s_or_b32 exec_lo, exec_lo, s2
	s_wait_dscnt 0x1
	v_add_f64_e64 v[128:129], v[132:133], -v[128:129]
	v_add_f64_e64 v[130:131], v[134:135], -v[130:131]
	s_wait_dscnt 0x0
	v_add_f64_e64 v[64:65], v[124:125], -v[64:65]
	v_add_f64_e64 v[66:67], v[126:127], -v[66:67]
	;; [unrolled: 1-line block ×10, first 2 shown]
	global_wb scope:SCOPE_SE
	s_barrier_signal -1
	s_barrier_wait -1
	global_inv scope:SCOPE_SE
	v_fma_f64 v[184:185], v[132:133], 2.0, -v[128:129]
	v_fma_f64 v[186:187], v[134:135], 2.0, -v[130:131]
	;; [unrolled: 1-line block ×12, first 2 shown]
	v_add_f64_e32 v[132:133], v[128:129], v[66:67]
	v_add_f64_e64 v[134:135], v[130:131], -v[64:65]
	v_add_f64_e32 v[136:137], v[164:165], v[162:163]
	v_add_f64_e64 v[138:139], v[166:167], -v[160:161]
	;; [unrolled: 2-line block ×3, first 2 shown]
	v_add_f64_e64 v[64:65], v[184:185], -v[124:125]
	v_add_f64_e64 v[66:67], v[186:187], -v[126:127]
	;; [unrolled: 1-line block ×6, first 2 shown]
	v_fma_f64 v[128:129], v[128:129], 2.0, -v[132:133]
	v_fma_f64 v[130:131], v[130:131], 2.0, -v[134:135]
	;; [unrolled: 1-line block ×12, first 2 shown]
	ds_store_b128 v6, v[144:147] offset:32
	ds_store_b128 v6, v[136:139] offset:48
	ds_store_b128 v6, v[160:163]
	ds_store_b128 v6, v[152:155] offset:16
	ds_store_b128 v16, v[164:167]
	ds_store_b128 v16, v[156:159] offset:16
	ds_store_b128 v16, v[148:151] offset:32
	;; [unrolled: 1-line block ×3, first 2 shown]
	s_and_saveexec_b32 s2, vcc_lo
	s_cbranch_execz .LBB0_25
; %bb.24:
	ds_store_b128 v5, v[124:127]
	ds_store_b128 v5, v[128:131] offset:16
	ds_store_b128 v5, v[64:67] offset:32
	;; [unrolled: 1-line block ×3, first 2 shown]
.LBB0_25:
	s_wait_alu 0xfffe
	s_or_b32 exec_lo, exec_lo, s2
	global_wb scope:SCOPE_SE
	s_wait_dscnt 0x0
	s_barrier_signal -1
	s_barrier_wait -1
	global_inv scope:SCOPE_SE
	ds_load_b128 v[132:135], v219
	ds_load_b128 v[136:139], v219 offset:2816
	ds_load_b128 v[152:155], v219 offset:12672
	;; [unrolled: 1-line block ×7, first 2 shown]
	s_and_saveexec_b32 s2, s0
	s_cbranch_execz .LBB0_27
; %bb.26:
	ds_load_b128 v[124:127], v219 offset:11264
	ds_load_b128 v[128:131], v219 offset:23936
.LBB0_27:
	s_wait_alu 0xfffe
	s_or_b32 exec_lo, exec_lo, s2
	s_wait_dscnt 0x5
	v_mul_f64_e32 v[164:165], v[38:39], v[154:155]
	v_mul_f64_e32 v[166:167], v[38:39], v[152:153]
	s_wait_dscnt 0x4
	v_mul_f64_e32 v[172:173], v[38:39], v[150:151]
	v_mul_f64_e32 v[174:175], v[38:39], v[148:149]
	;; [unrolled: 3-line block ×4, first 2 shown]
	v_mul_f64_e32 v[184:185], v[38:39], v[130:131]
	v_mul_f64_e32 v[38:39], v[38:39], v[128:129]
	global_wb scope:SCOPE_SE
	s_barrier_signal -1
	s_barrier_wait -1
	global_inv scope:SCOPE_SE
	v_fma_f64 v[152:153], v[36:37], v[152:153], v[164:165]
	v_fma_f64 v[154:155], v[36:37], v[154:155], -v[166:167]
	v_fma_f64 v[148:149], v[36:37], v[148:149], v[172:173]
	v_fma_f64 v[150:151], v[36:37], v[150:151], -v[174:175]
	v_fma_f64 v[160:161], v[36:37], v[160:161], v[176:177]
	v_fma_f64 v[162:163], v[36:37], v[162:163], -v[178:179]
	v_fma_f64 v[164:165], v[36:37], v[156:157], v[180:181]
	v_fma_f64 v[166:167], v[36:37], v[158:159], -v[182:183]
	v_fma_f64 v[172:173], v[36:37], v[128:129], v[184:185]
	v_fma_f64 v[38:39], v[36:37], v[130:131], -v[38:39]
	v_add_f64_e64 v[128:129], v[132:133], -v[152:153]
	v_add_f64_e64 v[130:131], v[134:135], -v[154:155]
	;; [unrolled: 1-line block ×10, first 2 shown]
	v_fma_f64 v[132:133], v[132:133], 2.0, -v[128:129]
	v_fma_f64 v[134:135], v[134:135], 2.0, -v[130:131]
	;; [unrolled: 1-line block ×10, first 2 shown]
	ds_store_b128 v17, v[132:135]
	ds_store_b128 v17, v[128:131] offset:64
	ds_store_b128 v19, v[136:139]
	ds_store_b128 v19, v[148:151] offset:64
	;; [unrolled: 2-line block ×4, first 2 shown]
	s_and_saveexec_b32 s2, s0
	s_cbranch_execz .LBB0_29
; %bb.28:
	v_and_or_b32 v124, 0x7f8, v225, v239
	s_delay_alu instid0(VALU_DEP_1)
	v_lshlrev_b32_e32 v124, 4, v124
	ds_store_b128 v124, v[152:155]
	ds_store_b128 v124, v[36:39] offset:64
.LBB0_29:
	s_wait_alu 0xfffe
	s_or_b32 exec_lo, exec_lo, s2
	global_wb scope:SCOPE_SE
	s_wait_dscnt 0x0
	s_barrier_signal -1
	s_barrier_wait -1
	global_inv scope:SCOPE_SE
	ds_load_b128 v[128:131], v219
	ds_load_b128 v[136:139], v219 offset:2816
	ds_load_b128 v[132:135], v219 offset:12672
	;; [unrolled: 1-line block ×7, first 2 shown]
	s_and_saveexec_b32 s2, s0
	s_cbranch_execz .LBB0_31
; %bb.30:
	ds_load_b128 v[152:155], v219 offset:11264
	ds_load_b128 v[36:39], v219 offset:23936
.LBB0_31:
	s_wait_alu 0xfffe
	s_or_b32 exec_lo, exec_lo, s2
	s_wait_dscnt 0x5
	v_mul_f64_e32 v[160:161], v[46:47], v[134:135]
	v_mul_f64_e32 v[162:163], v[46:47], v[132:133]
	s_wait_dscnt 0x4
	v_mul_f64_e32 v[164:165], v[46:47], v[126:127]
	v_mul_f64_e32 v[166:167], v[46:47], v[124:125]
	;; [unrolled: 3-line block ×4, first 2 shown]
	v_mul_f64_e32 v[180:181], v[46:47], v[38:39]
	v_mul_f64_e32 v[46:47], v[46:47], v[36:37]
	global_wb scope:SCOPE_SE
	s_barrier_signal -1
	s_barrier_wait -1
	global_inv scope:SCOPE_SE
	v_fma_f64 v[132:133], v[44:45], v[132:133], v[160:161]
	v_fma_f64 v[134:135], v[44:45], v[134:135], -v[162:163]
	v_fma_f64 v[124:125], v[44:45], v[124:125], v[164:165]
	v_fma_f64 v[126:127], v[44:45], v[126:127], -v[166:167]
	;; [unrolled: 2-line block ×5, first 2 shown]
	v_add_f64_e64 v[44:45], v[128:129], -v[132:133]
	v_add_f64_e64 v[46:47], v[130:131], -v[134:135]
	;; [unrolled: 1-line block ×10, first 2 shown]
	v_fma_f64 v[36:37], v[128:129], 2.0, -v[44:45]
	v_fma_f64 v[38:39], v[130:131], 2.0, -v[46:47]
	;; [unrolled: 1-line block ×10, first 2 shown]
	ds_store_b128 v24, v[36:39]
	ds_store_b128 v24, v[44:47] offset:128
	ds_store_b128 v23, v[128:131]
	ds_store_b128 v23, v[124:127] offset:128
	;; [unrolled: 2-line block ×4, first 2 shown]
	s_and_saveexec_b32 s2, s0
	s_cbranch_execz .LBB0_33
; %bb.32:
	v_and_or_b32 v156, 0x7f0, v225, v227
	s_delay_alu instid0(VALU_DEP_1)
	v_lshlrev_b32_e32 v156, 4, v156
	ds_store_b128 v156, v[152:155]
	ds_store_b128 v156, v[144:147] offset:128
.LBB0_33:
	s_wait_alu 0xfffe
	s_or_b32 exec_lo, exec_lo, s2
	global_wb scope:SCOPE_SE
	s_wait_dscnt 0x0
	s_barrier_signal -1
	s_barrier_wait -1
	global_inv scope:SCOPE_SE
	s_and_saveexec_b32 s0, s1
	s_cbranch_execz .LBB0_35
; %bb.34:
	ds_load_b128 v[36:39], v219
	ds_load_b128 v[44:47], v219 offset:2304
	ds_load_b128 v[128:131], v219 offset:4608
	;; [unrolled: 1-line block ×10, first 2 shown]
.LBB0_35:
	s_wait_alu 0xfffe
	s_or_b32 exec_lo, exec_lo, s0
	global_wb scope:SCOPE_SE
	s_wait_dscnt 0x0
	s_barrier_signal -1
	s_barrier_wait -1
	global_inv scope:SCOPE_SE
	s_and_saveexec_b32 s30, s1
	s_cbranch_execz .LBB0_37
; %bb.36:
	v_mul_f64_e32 v[156:157], v[34:35], v[44:45]
	v_mul_f64_e32 v[34:35], v[34:35], v[46:47]
	s_mov_b32 s25, 0x3fed1bb4
	s_mov_b32 s24, 0x8eee2c13
	;; [unrolled: 1-line block ×11, first 2 shown]
	s_wait_alu 0xfffe
	s_mov_b32 s26, s16
	s_mov_b32 s0, 0x640f44db
	;; [unrolled: 1-line block ×15, first 2 shown]
	s_delay_alu instid0(VALU_DEP_2) | instskip(NEXT) | instid1(VALU_DEP_2)
	v_fma_f64 v[156:157], v[32:33], v[46:47], -v[156:157]
	v_fma_f64 v[158:159], v[32:33], v[44:45], v[34:35]
	v_mul_f64_e32 v[34:35], v[82:83], v[132:133]
	v_mul_f64_e32 v[46:47], v[78:79], v[148:149]
	;; [unrolled: 1-line block ×3, first 2 shown]
	s_delay_alu instid0(VALU_DEP_3) | instskip(SKIP_1) | instid1(VALU_DEP_4)
	v_fma_f64 v[44:45], v[80:81], v[134:135], -v[34:35]
	v_mul_f64_e32 v[34:35], v[78:79], v[150:151]
	v_fma_f64 v[46:47], v[76:77], v[150:151], -v[46:47]
	s_delay_alu instid0(VALU_DEP_4) | instskip(NEXT) | instid1(VALU_DEP_3)
	v_fma_f64 v[32:33], v[80:81], v[132:133], v[32:33]
	v_fma_f64 v[34:35], v[76:77], v[148:149], v[34:35]
	v_mul_f64_e32 v[76:77], v[74:75], v[138:139]
	v_mul_f64_e32 v[74:75], v[74:75], v[136:137]
	v_add_f64_e32 v[206:207], v[46:47], v[44:45]
	s_delay_alu instid0(VALU_DEP_4) | instskip(NEXT) | instid1(VALU_DEP_4)
	v_add_f64_e32 v[210:211], v[34:35], v[32:33]
	v_fma_f64 v[76:77], v[72:73], v[136:137], v[76:77]
	s_delay_alu instid0(VALU_DEP_4) | instskip(SKIP_2) | instid1(VALU_DEP_2)
	v_fma_f64 v[74:75], v[72:73], v[138:139], -v[74:75]
	v_mul_f64_e32 v[72:73], v[70:71], v[142:143]
	v_mul_f64_e32 v[70:71], v[70:71], v[140:141]
	v_fma_f64 v[72:73], v[68:69], v[140:141], v[72:73]
	s_delay_alu instid0(VALU_DEP_2) | instskip(SKIP_4) | instid1(VALU_DEP_4)
	v_fma_f64 v[68:69], v[68:69], v[142:143], -v[70:71]
	v_mul_f64_e32 v[70:71], v[62:63], v[126:127]
	v_mul_f64_e32 v[62:63], v[62:63], v[124:125]
	v_add_f64_e64 v[140:141], v[32:33], -v[34:35]
	v_add_f64_e64 v[142:143], v[44:45], -v[46:47]
	v_fma_f64 v[70:71], v[60:61], v[124:125], v[70:71]
	s_delay_alu instid0(VALU_DEP_4)
	v_fma_f64 v[62:63], v[60:61], v[126:127], -v[62:63]
	v_mul_f64_e32 v[60:61], v[58:59], v[154:155]
	v_mul_f64_e32 v[58:59], v[58:59], v[152:153]
	;; [unrolled: 1-line block ×6, first 2 shown]
	v_fma_f64 v[60:61], v[56:57], v[152:153], v[60:61]
	v_fma_f64 v[56:57], v[56:57], v[154:155], -v[58:59]
	v_mul_f64_e32 v[58:59], v[50:51], v[130:131]
	v_mul_f64_e32 v[50:51], v[50:51], v[128:129]
	s_delay_alu instid0(VALU_DEP_2) | instskip(NEXT) | instid1(VALU_DEP_2)
	v_fma_f64 v[58:59], v[48:49], v[128:129], v[58:59]
	v_fma_f64 v[78:79], v[48:49], v[130:131], -v[50:51]
	v_mul_f64_e32 v[48:49], v[54:55], v[146:147]
	v_mul_f64_e32 v[50:51], v[54:55], v[144:145]
	v_add_f64_e64 v[54:55], v[74:75], -v[68:69]
	s_delay_alu instid0(VALU_DEP_3) | instskip(NEXT) | instid1(VALU_DEP_3)
	v_fma_f64 v[48:49], v[52:53], v[144:145], v[48:49]
	v_fma_f64 v[52:53], v[52:53], v[146:147], -v[50:51]
	v_mul_f64_e32 v[50:51], v[42:43], v[66:67]
	v_mul_f64_e32 v[42:43], v[42:43], v[64:65]
	v_add_f64_e64 v[144:145], v[70:71], -v[60:61]
	v_add_f64_e64 v[146:147], v[62:63], -v[56:57]
	;; [unrolled: 1-line block ×3, first 2 shown]
	v_add_f64_e32 v[192:193], v[52:53], v[78:79]
	v_fma_f64 v[50:51], v[40:41], v[64:65], v[50:51]
	v_fma_f64 v[40:41], v[40:41], v[66:67], -v[42:43]
	v_add_f64_e64 v[42:43], v[76:77], -v[72:73]
	v_mul_f64_e32 v[66:67], s[24:25], v[54:55]
	v_mul_f64_e32 v[132:133], s[24:25], v[144:145]
	;; [unrolled: 1-line block ×3, first 2 shown]
	v_add_f64_e32 v[194:195], v[48:49], v[58:59]
	v_mul_f64_e32 v[198:199], s[18:19], v[146:147]
	v_add_f64_e64 v[80:81], v[158:159], -v[50:51]
	v_add_f64_e32 v[138:139], v[40:41], v[156:157]
	v_mul_f64_e32 v[64:65], s[24:25], v[42:43]
	s_mov_b32 s25, 0xbfed1bb4
	v_add_f64_e32 v[174:175], v[50:51], v[158:159]
	v_add_f64_e32 v[158:159], v[36:37], v[158:159]
	v_mul_f64_e32 v[82:83], s[22:23], v[80:81]
	v_mul_f64_e32 v[128:129], s[18:19], v[80:81]
	;; [unrolled: 1-line block ×3, first 2 shown]
	s_wait_alu 0xfffe
	v_mul_f64_e32 v[136:137], s[26:27], v[80:81]
	v_mul_f64_e32 v[80:81], s[24:25], v[80:81]
	v_fma_f64 v[148:149], v[138:139], s[12:13], v[82:83]
	v_fma_f64 v[82:83], v[138:139], s[12:13], -v[82:83]
	v_fma_f64 v[150:151], v[138:139], s[10:11], v[128:129]
	v_fma_f64 v[128:129], v[138:139], s[10:11], -v[128:129]
	;; [unrolled: 2-line block ×4, first 2 shown]
	v_fma_f64 v[160:161], v[138:139], s[2:3], -v[80:81]
	v_fma_f64 v[80:81], v[138:139], s[2:3], v[80:81]
	v_add_f64_e64 v[138:139], v[156:157], -v[40:41]
	v_add_f64_e32 v[156:157], v[38:39], v[156:157]
	v_add_f64_e32 v[148:149], v[38:39], v[148:149]
	v_add_f64_e32 v[82:83], v[38:39], v[82:83]
	v_add_f64_e32 v[150:151], v[38:39], v[150:151]
	v_add_f64_e32 v[128:129], v[38:39], v[128:129]
	v_add_f64_e32 v[152:153], v[38:39], v[152:153]
	v_add_f64_e32 v[154:155], v[38:39], v[154:155]
	v_add_f64_e32 v[136:137], v[38:39], v[136:137]
	v_add_f64_e32 v[160:161], v[38:39], v[160:161]
	v_add_f64_e32 v[186:187], v[38:39], v[80:81]
	v_mul_f64_e32 v[162:163], s[22:23], v[138:139]
	v_mul_f64_e32 v[164:165], s[18:19], v[138:139]
	;; [unrolled: 1-line block ×6, first 2 shown]
	v_fma_f64 v[176:177], v[174:175], s[12:13], -v[162:163]
	v_fma_f64 v[162:163], v[174:175], s[12:13], v[162:163]
	v_fma_f64 v[178:179], v[174:175], s[10:11], -v[164:165]
	v_fma_f64 v[164:165], v[174:175], s[10:11], v[164:165]
	;; [unrolled: 2-line block ×3, first 2 shown]
	v_fma_f64 v[182:183], v[174:175], s[14:15], v[172:173]
	v_fma_f64 v[172:173], v[174:175], s[14:15], -v[172:173]
	v_fma_f64 v[184:185], v[174:175], s[2:3], v[138:139]
	v_fma_f64 v[138:139], v[174:175], s[2:3], -v[138:139]
	v_add_f64_e32 v[174:175], v[36:37], v[176:177]
	v_add_f64_e32 v[162:163], v[36:37], v[162:163]
	;; [unrolled: 1-line block ×10, first 2 shown]
	v_fma_f64 v[36:37], v[192:193], s[14:15], v[80:81]
	v_add_f64_e32 v[180:181], v[38:39], v[130:131]
	v_mul_f64_e32 v[138:139], s[18:19], v[144:145]
	v_fma_f64 v[80:81], v[192:193], s[14:15], -v[80:81]
	s_delay_alu instid0(VALU_DEP_4) | instskip(SKIP_1) | instid1(VALU_DEP_3)
	v_add_f64_e32 v[36:37], v[36:37], v[148:149]
	v_add_f64_e64 v[148:149], v[78:79], -v[52:53]
	v_add_f64_e32 v[80:81], v[80:81], v[82:83]
	s_delay_alu instid0(VALU_DEP_2) | instskip(NEXT) | instid1(VALU_DEP_1)
	v_mul_f64_e32 v[130:131], s[16:17], v[148:149]
	v_fma_f64 v[38:39], v[194:195], s[14:15], -v[130:131]
	v_fma_f64 v[82:83], v[194:195], s[14:15], v[130:131]
	s_delay_alu instid0(VALU_DEP_2) | instskip(SKIP_1) | instid1(VALU_DEP_3)
	v_add_f64_e32 v[38:39], v[38:39], v[174:175]
	v_add_f64_e32 v[174:175], v[62:63], v[56:57]
	;; [unrolled: 1-line block ×3, first 2 shown]
	s_delay_alu instid0(VALU_DEP_2) | instskip(SKIP_2) | instid1(VALU_DEP_3)
	v_fma_f64 v[196:197], v[174:175], s[10:11], v[138:139]
	v_fma_f64 v[130:131], v[174:175], s[10:11], -v[138:139]
	v_mul_f64_e32 v[138:139], s[28:29], v[148:149]
	v_add_f64_e32 v[36:37], v[196:197], v[36:37]
	v_add_f64_e32 v[196:197], v[70:71], v[60:61]
	s_delay_alu instid0(VALU_DEP_4) | instskip(NEXT) | instid1(VALU_DEP_2)
	v_add_f64_e32 v[80:81], v[130:131], v[80:81]
	v_fma_f64 v[200:201], v[196:197], s[10:11], -v[198:199]
	v_fma_f64 v[130:131], v[196:197], s[10:11], v[198:199]
	s_delay_alu instid0(VALU_DEP_2) | instskip(SKIP_1) | instid1(VALU_DEP_3)
	v_add_f64_e32 v[38:39], v[200:201], v[38:39]
	v_add_f64_e32 v[200:201], v[74:75], v[68:69]
	;; [unrolled: 1-line block ×3, first 2 shown]
	v_mul_f64_e32 v[130:131], s[28:29], v[190:191]
	s_delay_alu instid0(VALU_DEP_3) | instskip(SKIP_1) | instid1(VALU_DEP_2)
	v_fma_f64 v[202:203], v[200:201], s[2:3], v[64:65]
	v_fma_f64 v[64:65], v[200:201], s[2:3], -v[64:65]
	v_add_f64_e32 v[36:37], v[202:203], v[36:37]
	v_add_f64_e32 v[202:203], v[76:77], v[72:73]
	s_delay_alu instid0(VALU_DEP_3) | instskip(NEXT) | instid1(VALU_DEP_2)
	v_add_f64_e32 v[64:65], v[64:65], v[80:81]
	v_fma_f64 v[204:205], v[202:203], s[2:3], -v[66:67]
	v_fma_f64 v[66:67], v[202:203], s[2:3], v[66:67]
	s_delay_alu instid0(VALU_DEP_2) | instskip(NEXT) | instid1(VALU_DEP_2)
	v_add_f64_e32 v[204:205], v[204:205], v[38:39]
	v_add_f64_e32 v[80:81], v[66:67], v[82:83]
	v_fma_f64 v[66:67], v[206:207], s[0:1], -v[208:209]
	v_fma_f64 v[82:83], v[210:211], s[0:1], v[212:213]
	v_fma_f64 v[38:39], v[206:207], s[0:1], v[208:209]
	s_delay_alu instid0(VALU_DEP_3) | instskip(NEXT) | instid1(VALU_DEP_3)
	v_add_f64_e32 v[66:67], v[66:67], v[64:65]
	v_add_f64_e32 v[64:65], v[82:83], v[80:81]
	v_fma_f64 v[80:81], v[192:193], s[0:1], v[130:131]
	v_fma_f64 v[82:83], v[194:195], s[0:1], -v[138:139]
	v_fma_f64 v[130:131], v[192:193], s[0:1], -v[130:131]
	v_add_f64_e32 v[38:39], v[38:39], v[36:37]
	v_fma_f64 v[36:37], v[210:211], s[0:1], -v[212:213]
	v_add_f64_e32 v[80:81], v[80:81], v[150:151]
	v_mul_f64_e32 v[150:151], s[26:27], v[144:145]
	v_add_f64_e32 v[82:83], v[82:83], v[176:177]
	v_add_f64_e32 v[128:129], v[130:131], v[128:129]
	v_fma_f64 v[130:131], v[194:195], s[0:1], v[138:139]
	v_add_f64_e32 v[36:37], v[36:37], v[204:205]
	v_fma_f64 v[162:163], v[174:175], s[14:15], v[150:151]
	v_fma_f64 v[138:139], v[174:175], s[14:15], -v[150:151]
	v_mul_f64_e32 v[150:151], s[34:35], v[148:149]
	v_add_f64_e32 v[130:131], v[130:131], v[164:165]
	s_delay_alu instid0(VALU_DEP_4) | instskip(SKIP_2) | instid1(VALU_DEP_2)
	v_add_f64_e32 v[80:81], v[162:163], v[80:81]
	v_mul_f64_e32 v[162:163], s[26:27], v[146:147]
	v_add_f64_e32 v[128:129], v[138:139], v[128:129]
	v_fma_f64 v[176:177], v[196:197], s[14:15], -v[162:163]
	v_fma_f64 v[138:139], v[196:197], s[14:15], v[162:163]
	s_delay_alu instid0(VALU_DEP_2) | instskip(SKIP_1) | instid1(VALU_DEP_3)
	v_add_f64_e32 v[82:83], v[176:177], v[82:83]
	v_mul_f64_e32 v[176:177], s[22:23], v[42:43]
	v_add_f64_e32 v[130:131], v[138:139], v[130:131]
	s_delay_alu instid0(VALU_DEP_2) | instskip(SKIP_2) | instid1(VALU_DEP_3)
	v_fma_f64 v[198:199], v[200:201], s[12:13], v[176:177]
	v_fma_f64 v[138:139], v[200:201], s[12:13], -v[176:177]
	v_mul_f64_e32 v[176:177], s[18:19], v[140:141]
	v_add_f64_e32 v[80:81], v[198:199], v[80:81]
	v_mul_f64_e32 v[198:199], s[22:23], v[54:55]
	s_delay_alu instid0(VALU_DEP_4) | instskip(NEXT) | instid1(VALU_DEP_2)
	v_add_f64_e32 v[128:129], v[138:139], v[128:129]
	v_fma_f64 v[204:205], v[202:203], s[12:13], -v[198:199]
	v_fma_f64 v[138:139], v[202:203], s[12:13], v[198:199]
	v_mul_f64_e32 v[198:199], s[16:17], v[142:143]
	s_delay_alu instid0(VALU_DEP_3) | instskip(SKIP_1) | instid1(VALU_DEP_4)
	v_add_f64_e32 v[204:205], v[204:205], v[82:83]
	v_fma_f64 v[82:83], v[206:207], s[2:3], v[124:125]
	v_add_f64_e32 v[130:131], v[138:139], v[130:131]
	v_fma_f64 v[124:125], v[206:207], s[2:3], -v[124:125]
	v_fma_f64 v[138:139], v[210:211], s[2:3], v[126:127]
	s_delay_alu instid0(VALU_DEP_4) | instskip(SKIP_1) | instid1(VALU_DEP_4)
	v_add_f64_e32 v[82:83], v[82:83], v[80:81]
	v_fma_f64 v[80:81], v[210:211], s[2:3], -v[126:127]
	v_add_f64_e32 v[126:127], v[124:125], v[128:129]
	s_delay_alu instid0(VALU_DEP_4) | instskip(SKIP_4) | instid1(VALU_DEP_4)
	v_add_f64_e32 v[124:125], v[138:139], v[130:131]
	v_mul_f64_e32 v[138:139], s[34:35], v[190:191]
	v_fma_f64 v[130:131], v[194:195], s[12:13], -v[150:151]
	v_fma_f64 v[150:151], v[194:195], s[12:13], v[150:151]
	v_add_f64_e32 v[80:81], v[80:81], v[204:205]
	v_fma_f64 v[128:129], v[192:193], s[12:13], v[138:139]
	s_delay_alu instid0(VALU_DEP_4)
	v_add_f64_e32 v[130:131], v[130:131], v[178:179]
	v_fma_f64 v[138:139], v[192:193], s[12:13], -v[138:139]
	v_add_f64_e32 v[150:151], v[150:151], v[166:167]
	v_mul_f64_e32 v[178:179], s[18:19], v[142:143]
	v_add_f64_e32 v[128:129], v[128:129], v[152:153]
	v_fma_f64 v[152:153], v[174:175], s[2:3], v[132:133]
	v_add_f64_e32 v[138:139], v[138:139], v[180:181]
	v_fma_f64 v[132:133], v[174:175], s[2:3], -v[132:133]
	v_mul_f64_e32 v[180:181], s[22:23], v[140:141]
	s_delay_alu instid0(VALU_DEP_4) | instskip(SKIP_1) | instid1(VALU_DEP_4)
	v_add_f64_e32 v[128:129], v[152:153], v[128:129]
	v_fma_f64 v[152:153], v[196:197], s[2:3], -v[134:135]
	v_add_f64_e32 v[132:133], v[132:133], v[138:139]
	v_fma_f64 v[134:135], v[196:197], s[2:3], v[134:135]
	s_delay_alu instid0(VALU_DEP_3) | instskip(SKIP_1) | instid1(VALU_DEP_3)
	v_add_f64_e32 v[130:131], v[152:153], v[130:131]
	v_mul_f64_e32 v[152:153], s[26:27], v[42:43]
	v_add_f64_e32 v[134:135], v[134:135], v[150:151]
	v_fma_f64 v[150:151], v[210:211], s[10:11], v[178:179]
	s_delay_alu instid0(VALU_DEP_3) | instskip(SKIP_3) | instid1(VALU_DEP_4)
	v_fma_f64 v[162:163], v[200:201], s[14:15], v[152:153]
	v_fma_f64 v[138:139], v[200:201], s[14:15], -v[152:153]
	v_mul_f64_e32 v[152:153], s[24:25], v[148:149]
	v_mul_f64_e32 v[148:149], s[18:19], v[148:149]
	v_add_f64_e32 v[128:129], v[162:163], v[128:129]
	v_mul_f64_e32 v[162:163], s[26:27], v[54:55]
	v_add_f64_e32 v[132:133], v[138:139], v[132:133]
	s_delay_alu instid0(VALU_DEP_2) | instskip(SKIP_3) | instid1(VALU_DEP_4)
	v_fma_f64 v[138:139], v[202:203], s[14:15], v[162:163]
	v_fma_f64 v[164:165], v[202:203], s[14:15], -v[162:163]
	v_mul_f64_e32 v[162:163], s[20:21], v[144:145]
	v_mul_f64_e32 v[144:145], s[34:35], v[144:145]
	v_add_f64_e32 v[138:139], v[138:139], v[134:135]
	v_fma_f64 v[134:135], v[206:207], s[10:11], -v[176:177]
	v_add_f64_e32 v[164:165], v[164:165], v[130:131]
	v_fma_f64 v[130:131], v[206:207], s[10:11], v[176:177]
	s_delay_alu instid0(VALU_DEP_3) | instskip(SKIP_2) | instid1(VALU_DEP_4)
	v_add_f64_e32 v[134:135], v[134:135], v[132:133]
	v_add_f64_e32 v[132:133], v[150:151], v[138:139]
	v_mul_f64_e32 v[150:151], s[24:25], v[190:191]
	v_add_f64_e32 v[130:131], v[130:131], v[128:129]
	v_fma_f64 v[128:129], v[210:211], s[10:11], -v[178:179]
	s_delay_alu instid0(VALU_DEP_3) | instskip(NEXT) | instid1(VALU_DEP_2)
	v_fma_f64 v[138:139], v[192:193], s[2:3], -v[150:151]
	v_add_f64_e32 v[128:129], v[128:129], v[164:165]
	v_fma_f64 v[164:165], v[174:175], s[0:1], -v[162:163]
	s_delay_alu instid0(VALU_DEP_3) | instskip(SKIP_1) | instid1(VALU_DEP_2)
	v_add_f64_e32 v[136:137], v[138:139], v[136:137]
	v_fma_f64 v[138:139], v[194:195], s[2:3], v[152:153]
	v_add_f64_e32 v[136:137], v[164:165], v[136:137]
	v_mul_f64_e32 v[164:165], s[20:21], v[146:147]
	s_delay_alu instid0(VALU_DEP_3) | instskip(SKIP_2) | instid1(VALU_DEP_4)
	v_add_f64_e32 v[138:139], v[138:139], v[182:183]
	v_mul_f64_e32 v[182:183], s[22:23], v[142:143]
	v_mul_f64_e32 v[146:147], s[34:35], v[146:147]
	v_fma_f64 v[166:167], v[196:197], s[0:1], v[164:165]
	s_delay_alu instid0(VALU_DEP_1) | instskip(SKIP_2) | instid1(VALU_DEP_2)
	v_add_f64_e32 v[138:139], v[166:167], v[138:139]
	v_mul_f64_e32 v[166:167], s[18:19], v[42:43]
	v_mul_f64_e32 v[42:43], s[28:29], v[42:43]
	v_fma_f64 v[176:177], v[200:201], s[10:11], -v[166:167]
	s_delay_alu instid0(VALU_DEP_1) | instskip(SKIP_2) | instid1(VALU_DEP_2)
	v_add_f64_e32 v[136:137], v[176:177], v[136:137]
	v_mul_f64_e32 v[176:177], s[18:19], v[54:55]
	v_mul_f64_e32 v[54:55], s[28:29], v[54:55]
	v_fma_f64 v[178:179], v[202:203], s[10:11], v[176:177]
	s_delay_alu instid0(VALU_DEP_1) | instskip(SKIP_1) | instid1(VALU_DEP_1)
	v_add_f64_e32 v[178:179], v[178:179], v[138:139]
	v_fma_f64 v[138:139], v[206:207], s[12:13], -v[180:181]
	v_add_f64_e32 v[138:139], v[138:139], v[136:137]
	v_fma_f64 v[136:137], v[210:211], s[12:13], v[182:183]
	s_delay_alu instid0(VALU_DEP_1) | instskip(SKIP_1) | instid1(VALU_DEP_1)
	v_add_f64_e32 v[136:137], v[136:137], v[178:179]
	v_mul_f64_e32 v[178:179], s[18:19], v[190:191]
	v_fma_f64 v[190:191], v[192:193], s[10:11], -v[178:179]
	s_delay_alu instid0(VALU_DEP_1) | instskip(SKIP_2) | instid1(VALU_DEP_2)
	v_add_f64_e32 v[160:161], v[190:191], v[160:161]
	v_fma_f64 v[190:191], v[194:195], s[10:11], v[148:149]
	v_fma_f64 v[148:149], v[194:195], s[10:11], -v[148:149]
	v_add_f64_e32 v[184:185], v[190:191], v[184:185]
	v_fma_f64 v[190:191], v[174:175], s[12:13], -v[144:145]
	v_fma_f64 v[144:145], v[174:175], s[12:13], v[144:145]
	s_delay_alu instid0(VALU_DEP_4) | instskip(NEXT) | instid1(VALU_DEP_3)
	v_add_f64_e32 v[148:149], v[148:149], v[188:189]
	v_add_f64_e32 v[160:161], v[190:191], v[160:161]
	v_fma_f64 v[190:191], v[196:197], s[12:13], v[146:147]
	v_fma_f64 v[146:147], v[196:197], s[12:13], -v[146:147]
	s_delay_alu instid0(VALU_DEP_2) | instskip(SKIP_2) | instid1(VALU_DEP_4)
	v_add_f64_e32 v[184:185], v[190:191], v[184:185]
	v_fma_f64 v[190:191], v[200:201], s[0:1], -v[42:43]
	v_fma_f64 v[42:43], v[200:201], s[0:1], v[42:43]
	v_add_f64_e32 v[146:147], v[146:147], v[148:149]
	v_fma_f64 v[148:149], v[210:211], s[14:15], -v[198:199]
	s_delay_alu instid0(VALU_DEP_4) | instskip(SKIP_2) | instid1(VALU_DEP_2)
	v_add_f64_e32 v[160:161], v[190:191], v[160:161]
	v_fma_f64 v[190:191], v[202:203], s[0:1], v[54:55]
	v_fma_f64 v[54:55], v[202:203], s[0:1], -v[54:55]
	v_add_f64_e32 v[184:185], v[190:191], v[184:185]
	v_mul_f64_e32 v[190:191], s[16:17], v[140:141]
	s_delay_alu instid0(VALU_DEP_3) | instskip(NEXT) | instid1(VALU_DEP_2)
	v_add_f64_e32 v[54:55], v[54:55], v[146:147]
	v_fma_f64 v[140:141], v[206:207], s[14:15], -v[190:191]
	s_delay_alu instid0(VALU_DEP_1) | instskip(SKIP_2) | instid1(VALU_DEP_2)
	v_add_f64_e32 v[142:143], v[140:141], v[160:161]
	v_fma_f64 v[160:161], v[192:193], s[10:11], v[178:179]
	v_fma_f64 v[140:141], v[210:211], s[14:15], v[198:199]
	v_add_f64_e32 v[160:161], v[160:161], v[186:187]
	s_delay_alu instid0(VALU_DEP_2) | instskip(NEXT) | instid1(VALU_DEP_2)
	v_add_f64_e32 v[140:141], v[140:141], v[184:185]
	v_add_f64_e32 v[144:145], v[144:145], v[160:161]
	s_delay_alu instid0(VALU_DEP_1) | instskip(SKIP_1) | instid1(VALU_DEP_1)
	v_add_f64_e32 v[42:43], v[42:43], v[144:145]
	v_fma_f64 v[144:145], v[206:207], s[14:15], v[190:191]
	v_add_f64_e32 v[146:147], v[144:145], v[42:43]
	v_add_f64_e32 v[42:43], v[78:79], v[156:157]
	;; [unrolled: 1-line block ×4, first 2 shown]
	s_delay_alu instid0(VALU_DEP_3) | instskip(NEXT) | instid1(VALU_DEP_2)
	v_add_f64_e32 v[42:43], v[62:63], v[42:43]
	v_add_f64_e32 v[54:55], v[70:71], v[54:55]
	s_delay_alu instid0(VALU_DEP_2) | instskip(NEXT) | instid1(VALU_DEP_2)
	v_add_f64_e32 v[42:43], v[74:75], v[42:43]
	v_add_f64_e32 v[54:55], v[76:77], v[54:55]
	s_delay_alu instid0(VALU_DEP_2) | instskip(SKIP_1) | instid1(VALU_DEP_3)
	v_add_f64_e32 v[42:43], v[44:45], v[42:43]
	v_fma_f64 v[44:45], v[174:175], s[0:1], v[162:163]
	v_add_f64_e32 v[32:33], v[32:33], v[54:55]
	s_delay_alu instid0(VALU_DEP_3) | instskip(SKIP_1) | instid1(VALU_DEP_3)
	v_add_f64_e32 v[42:43], v[46:47], v[42:43]
	v_fma_f64 v[46:47], v[196:197], s[0:1], -v[164:165]
	v_add_f64_e32 v[32:33], v[34:35], v[32:33]
	s_delay_alu instid0(VALU_DEP_3) | instskip(SKIP_1) | instid1(VALU_DEP_3)
	v_add_f64_e32 v[34:35], v[68:69], v[42:43]
	v_fma_f64 v[42:43], v[194:195], s[2:3], -v[152:153]
	v_add_f64_e32 v[32:33], v[72:73], v[32:33]
	s_delay_alu instid0(VALU_DEP_3) | instskip(NEXT) | instid1(VALU_DEP_3)
	v_add_f64_e32 v[34:35], v[56:57], v[34:35]
	v_add_f64_e32 v[42:43], v[42:43], v[172:173]
	s_delay_alu instid0(VALU_DEP_3) | instskip(NEXT) | instid1(VALU_DEP_3)
	v_add_f64_e32 v[32:33], v[60:61], v[32:33]
	;; [unrolled: 3-line block ×3, first 2 shown]
	v_add_f64_e32 v[32:33], v[48:49], v[32:33]
	v_fma_f64 v[48:49], v[200:201], s[10:11], v[166:167]
	v_fma_f64 v[46:47], v[210:211], s[12:13], -v[182:183]
	v_add_f64_e32 v[34:35], v[40:41], v[34:35]
	v_fma_f64 v[40:41], v[192:193], s[2:3], v[150:151]
	v_add_f64_e32 v[32:33], v[50:51], v[32:33]
	v_fma_f64 v[50:51], v[202:203], s[10:11], -v[176:177]
	s_delay_alu instid0(VALU_DEP_3) | instskip(NEXT) | instid1(VALU_DEP_1)
	v_add_f64_e32 v[40:41], v[40:41], v[154:155]
	v_add_f64_e32 v[40:41], v[44:45], v[40:41]
	v_fma_f64 v[44:45], v[206:207], s[12:13], v[180:181]
	s_delay_alu instid0(VALU_DEP_2) | instskip(SKIP_1) | instid1(VALU_DEP_2)
	v_add_f64_e32 v[40:41], v[48:49], v[40:41]
	v_add_f64_e32 v[48:49], v[50:51], v[42:43]
	;; [unrolled: 1-line block ×3, first 2 shown]
	s_delay_alu instid0(VALU_DEP_2) | instskip(SKIP_1) | instid1(VALU_DEP_1)
	v_add_f64_e32 v[40:41], v[46:47], v[48:49]
	v_mul_u32_u24_e32 v44, 0xb0, v224
	v_or_b32_e32 v44, v44, v238
	s_delay_alu instid0(VALU_DEP_1)
	v_lshlrev_b32_e32 v44, 4, v44
	ds_store_b128 v44, v[124:127] offset:1024
	ds_store_b128 v44, v[64:67] offset:1280
	;; [unrolled: 1-line block ×9, first 2 shown]
	ds_store_b128 v44, v[32:35]
	ds_store_b128 v44, v[40:43] offset:2560
.LBB0_37:
	s_wait_alu 0xfffe
	s_or_b32 exec_lo, exec_lo, s30
	global_wb scope:SCOPE_SE
	s_wait_dscnt 0x0
	s_barrier_signal -1
	s_barrier_wait -1
	global_inv scope:SCOPE_SE
	ds_load_b128 v[32:35], v219 offset:8448
	ds_load_b128 v[36:39], v219 offset:16896
	;; [unrolled: 1-line block ×7, first 2 shown]
	s_mov_b32 s0, 0xe8584caa
	s_mov_b32 s1, 0xbfebb67a
	;; [unrolled: 1-line block ×3, first 2 shown]
	s_wait_alu 0xfffe
	s_mov_b32 s2, s0
	s_wait_dscnt 0x6
	v_mul_f64_e32 v[60:61], v[90:91], v[34:35]
	s_wait_dscnt 0x5
	v_mul_f64_e32 v[62:63], v[86:87], v[38:39]
	v_mul_f64_e32 v[64:65], v[90:91], v[32:33]
	v_mul_f64_e32 v[66:67], v[86:87], v[36:37]
	s_wait_dscnt 0x4
	v_mul_f64_e32 v[68:69], v[90:91], v[42:43]
	s_wait_dscnt 0x3
	v_mul_f64_e32 v[70:71], v[86:87], v[46:47]
	v_mul_f64_e32 v[72:73], v[90:91], v[40:41]
	v_mul_f64_e32 v[74:75], v[86:87], v[44:45]
	;; [unrolled: 6-line block ×3, first 2 shown]
	v_fma_f64 v[60:61], v[88:89], v[32:33], v[60:61]
	v_fma_f64 v[62:63], v[84:85], v[36:37], v[62:63]
	v_fma_f64 v[64:65], v[88:89], v[34:35], -v[64:65]
	v_fma_f64 v[66:67], v[84:85], v[38:39], -v[66:67]
	v_fma_f64 v[40:41], v[88:89], v[40:41], v[68:69]
	v_fma_f64 v[44:45], v[84:85], v[44:45], v[70:71]
	v_fma_f64 v[42:43], v[88:89], v[42:43], -v[72:73]
	v_fma_f64 v[46:47], v[84:85], v[46:47], -v[74:75]
	;; [unrolled: 4-line block ×3, first 2 shown]
	ds_load_b128 v[32:35], v219
	ds_load_b128 v[36:39], v219 offset:2816
	global_wb scope:SCOPE_SE
	s_wait_dscnt 0x0
	s_barrier_signal -1
	s_barrier_wait -1
	global_inv scope:SCOPE_SE
	v_add_f64_e32 v[80:81], v[32:33], v[60:61]
	v_add_f64_e32 v[68:69], v[60:61], v[62:63]
	v_add_f64_e64 v[60:61], v[60:61], -v[62:63]
	v_add_f64_e32 v[70:71], v[64:65], v[66:67]
	v_add_f64_e64 v[82:83], v[64:65], -v[66:67]
	v_add_f64_e32 v[72:73], v[40:41], v[44:45]
	v_add_f64_e32 v[64:65], v[34:35], v[64:65]
	;; [unrolled: 1-line block ×9, first 2 shown]
	v_add_f64_e64 v[92:93], v[42:43], -v[46:47]
	v_add_f64_e64 v[94:95], v[40:41], -v[44:45]
	;; [unrolled: 1-line block ×4, first 2 shown]
	v_fma_f64 v[68:69], v[68:69], -0.5, v[32:33]
	v_add_f64_e32 v[32:33], v[80:81], v[62:63]
	v_fma_f64 v[70:71], v[70:71], -0.5, v[34:35]
	v_fma_f64 v[72:73], v[72:73], -0.5, v[36:37]
	v_add_f64_e32 v[34:35], v[64:65], v[66:67]
	v_fma_f64 v[74:75], v[74:75], -0.5, v[38:39]
	v_add_f64_e32 v[36:37], v[84:85], v[44:45]
	;; [unrolled: 2-line block ×4, first 2 shown]
	v_add_f64_e32 v[42:43], v[90:91], v[54:55]
	v_fma_f64 v[44:45], v[82:83], s[0:1], v[68:69]
	s_wait_alu 0xfffe
	v_fma_f64 v[48:49], v[82:83], s[2:3], v[68:69]
	v_fma_f64 v[46:47], v[60:61], s[2:3], v[70:71]
	;; [unrolled: 1-line block ×11, first 2 shown]
	ds_store_b128 v219, v[32:35]
	ds_store_b128 v219, v[44:47] offset:2816
	ds_store_b128 v219, v[48:51] offset:5632
	ds_store_b128 v219, v[36:39] offset:8448
	ds_store_b128 v219, v[52:55] offset:11264
	ds_store_b128 v219, v[56:59] offset:14080
	ds_store_b128 v171, v[40:43] offset:16896
	ds_store_b128 v171, v[60:63] offset:19712
	ds_store_b128 v171, v[64:67] offset:22528
	global_wb scope:SCOPE_SE
	s_wait_dscnt 0x0
	s_barrier_signal -1
	s_barrier_wait -1
	global_inv scope:SCOPE_SE
	ds_load_b128 v[32:35], v219 offset:8448
	ds_load_b128 v[36:39], v219 offset:16896
	;; [unrolled: 1-line block ×7, first 2 shown]
	s_wait_dscnt 0x6
	v_mul_f64_e32 v[60:61], v[106:107], v[34:35]
	s_wait_dscnt 0x5
	v_mul_f64_e32 v[62:63], v[102:103], v[38:39]
	v_mul_f64_e32 v[64:65], v[106:107], v[32:33]
	v_mul_f64_e32 v[66:67], v[102:103], v[36:37]
	s_wait_dscnt 0x4
	v_mul_f64_e32 v[68:69], v[114:115], v[42:43]
	s_wait_dscnt 0x3
	v_mul_f64_e32 v[70:71], v[110:111], v[46:47]
	v_mul_f64_e32 v[72:73], v[114:115], v[40:41]
	v_mul_f64_e32 v[74:75], v[110:111], v[44:45]
	;; [unrolled: 6-line block ×3, first 2 shown]
	v_fma_f64 v[60:61], v[104:105], v[32:33], v[60:61]
	v_fma_f64 v[62:63], v[100:101], v[36:37], v[62:63]
	v_fma_f64 v[64:65], v[104:105], v[34:35], -v[64:65]
	v_fma_f64 v[66:67], v[100:101], v[38:39], -v[66:67]
	v_fma_f64 v[40:41], v[112:113], v[40:41], v[68:69]
	v_fma_f64 v[44:45], v[108:109], v[44:45], v[70:71]
	v_fma_f64 v[42:43], v[112:113], v[42:43], -v[72:73]
	v_fma_f64 v[46:47], v[108:109], v[46:47], -v[74:75]
	;; [unrolled: 4-line block ×3, first 2 shown]
	ds_load_b128 v[32:35], v219
	ds_load_b128 v[36:39], v219 offset:2816
	s_wait_dscnt 0x1
	v_add_f64_e32 v[80:81], v[32:33], v[60:61]
	v_add_f64_e32 v[68:69], v[60:61], v[62:63]
	v_add_f64_e64 v[60:61], v[60:61], -v[62:63]
	v_add_f64_e32 v[70:71], v[64:65], v[66:67]
	v_add_f64_e64 v[82:83], v[64:65], -v[66:67]
	v_add_f64_e32 v[72:73], v[40:41], v[44:45]
	v_add_f64_e32 v[64:65], v[34:35], v[64:65]
	;; [unrolled: 1-line block ×3, first 2 shown]
	s_wait_dscnt 0x0
	v_add_f64_e32 v[84:85], v[36:37], v[40:41]
	v_add_f64_e32 v[76:77], v[48:49], v[52:53]
	v_add_f64_e32 v[86:87], v[38:39], v[42:43]
	v_add_f64_e32 v[78:79], v[50:51], v[54:55]
	v_add_f64_e64 v[92:93], v[42:43], -v[46:47]
	v_add_f64_e64 v[94:95], v[40:41], -v[44:45]
	v_add_f64_e32 v[88:89], v[56:57], v[48:49]
	v_add_f64_e32 v[90:91], v[58:59], v[50:51]
	v_add_f64_e64 v[96:97], v[50:51], -v[54:55]
	v_add_f64_e64 v[98:99], v[48:49], -v[52:53]
	v_fma_f64 v[68:69], v[68:69], -0.5, v[32:33]
	v_add_f64_e32 v[32:33], v[80:81], v[62:63]
	v_fma_f64 v[70:71], v[70:71], -0.5, v[34:35]
	v_mad_co_u64_u32 v[80:81], null, s6, v223, 0
	v_fma_f64 v[72:73], v[72:73], -0.5, v[36:37]
	v_fma_f64 v[74:75], v[74:75], -0.5, v[38:39]
	v_add_f64_e32 v[34:35], v[64:65], v[66:67]
	v_fma_f64 v[76:77], v[76:77], -0.5, v[56:57]
	v_add_f64_e32 v[36:37], v[84:85], v[44:45]
	;; [unrolled: 2-line block ×3, first 2 shown]
	v_add_f64_e32 v[40:41], v[88:89], v[52:53]
	v_add_f64_e32 v[42:43], v[90:91], v[54:55]
	v_fma_f64 v[48:49], v[82:83], s[2:3], v[68:69]
	v_fma_f64 v[44:45], v[82:83], s[0:1], v[68:69]
	;; [unrolled: 1-line block ×4, first 2 shown]
	v_mad_co_u64_u32 v[82:83], null, s4, v220, 0
	v_fma_f64 v[56:57], v[92:93], s[2:3], v[72:73]
	v_fma_f64 v[58:59], v[94:95], s[0:1], v[74:75]
	;; [unrolled: 1-line block ×8, first 2 shown]
	v_mad_co_u64_u32 v[84:85], null, s7, v223, v[81:82]
	v_mov_b32_e32 v81, v83
	s_mov_b32 s6, 0xa052bf5b
	s_mul_u64 s[2:3], s[4:5], 0x18c
	s_mov_b32 s7, 0x3f44afd6
	s_wait_alu 0xfffe
	s_lshl_b64 s[2:3], s[2:3], 4
	v_mad_co_u64_u32 v[85:86], null, s5, v220, v[81:82]
	v_mov_b32_e32 v81, v84
	ds_store_b128 v219, v[32:35]
	ds_store_b128 v219, v[36:39] offset:2816
	ds_store_b128 v219, v[48:51] offset:16896
	ds_store_b128 v219, v[56:59] offset:19712
	ds_store_b128 v219, v[44:47] offset:8448
	ds_store_b128 v219, v[40:43] offset:5632
	ds_store_b128 v219, v[52:55] offset:11264
	ds_store_b128 v219, v[60:63] offset:14080
	ds_store_b128 v219, v[64:67] offset:22528
	global_wb scope:SCOPE_SE
	s_wait_dscnt 0x0
	s_barrier_signal -1
	s_barrier_wait -1
	global_inv scope:SCOPE_SE
	ds_load_b128 v[32:35], v219
	ds_load_b128 v[36:39], v219 offset:6336
	ds_load_b128 v[40:43], v219 offset:12672
	;; [unrolled: 1-line block ×7, first 2 shown]
	s_clause 0x3
	scratch_load_b128 v[4:7], off, off offset:16 th:TH_LOAD_LU
	scratch_load_b128 v[12:15], off, off th:TH_LOAD_LU
	scratch_load_b128 v[20:23], off, off offset:32 th:TH_LOAD_LU
	scratch_load_b128 v[24:27], off, off offset:48 th:TH_LOAD_LU
	v_mov_b32_e32 v83, v85
	s_wait_dscnt 0x7
	v_mul_f64_e32 v[64:65], v[234:235], v[34:35]
	v_mul_f64_e32 v[10:11], v[234:235], v[32:33]
	s_wait_dscnt 0x5
	v_mul_f64_e32 v[68:69], v[230:231], v[42:43]
	s_wait_dscnt 0x4
	v_mul_f64_e32 v[70:71], v[2:3], v[46:47]
	v_mul_f64_e32 v[2:3], v[2:3], v[44:45]
	s_wait_dscnt 0x0
	v_mul_f64_e32 v[78:79], v[30:31], v[62:63]
	v_mul_f64_e32 v[30:31], v[30:31], v[60:61]
	v_fma_f64 v[32:33], v[232:233], v[32:33], v[64:65]
	v_fma_f64 v[8:9], v[232:233], v[34:35], -v[10:11]
	s_wait_loadcnt 0x3
	v_mul_f64_e32 v[66:67], v[6:7], v[38:39]
	v_mul_f64_e32 v[18:19], v[6:7], v[36:37]
	;; [unrolled: 1-line block ×3, first 2 shown]
	s_wait_loadcnt 0x2
	v_mul_f64_e32 v[72:73], v[14:15], v[50:51]
	v_mul_f64_e32 v[14:15], v[14:15], v[48:49]
	s_wait_loadcnt 0x1
	v_mul_f64_e32 v[74:75], v[22:23], v[54:55]
	v_mul_f64_e32 v[22:23], v[22:23], v[52:53]
	;; [unrolled: 3-line block ×3, first 2 shown]
	v_fma_f64 v[10:11], v[4:5], v[36:37], v[66:67]
	v_fma_f64 v[16:17], v[4:5], v[38:39], -v[18:19]
	v_fma_f64 v[18:19], v[228:229], v[40:41], v[68:69]
	v_fma_f64 v[34:35], v[228:229], v[42:43], -v[6:7]
	;; [unrolled: 2-line block ×7, first 2 shown]
	v_lshlrev_b64_e32 v[2:3], 4, v[80:81]
	v_lshlrev_b64_e32 v[4:5], 4, v[82:83]
	s_delay_alu instid0(VALU_DEP_2) | instskip(SKIP_1) | instid1(VALU_DEP_3)
	v_add_co_u32 v2, s0, s8, v2
	s_wait_alu 0xf1ff
	v_add_co_ci_u32_e64 v3, s0, s9, v3, s0
	s_movk_i32 s8, 0xfc0c
	s_delay_alu instid0(VALU_DEP_2) | instskip(SKIP_1) | instid1(VALU_DEP_2)
	v_add_co_u32 v54, s0, v2, v4
	s_wait_alu 0xf1ff
	v_add_co_ci_u32_e64 v55, s0, v3, v5, s0
	v_mul_f64_e32 v[2:3], s[6:7], v[32:33]
	v_mul_f64_e32 v[4:5], s[6:7], v[8:9]
	s_wait_alu 0xfffe
	v_add_co_u32 v56, s0, v54, s2
	s_wait_alu 0xf1ff
	v_add_co_ci_u32_e64 v57, s0, s3, v55, s0
	s_mov_b32 s9, -1
	s_wait_alu 0xfffe
	s_mul_u64 s[4:5], s[4:5], s[8:9]
	v_mul_f64_e32 v[6:7], s[6:7], v[10:11]
	v_mul_f64_e32 v[8:9], s[6:7], v[16:17]
	v_mul_f64_e32 v[10:11], s[6:7], v[18:19]
	v_mul_f64_e32 v[12:13], s[6:7], v[34:35]
	v_mul_f64_e32 v[14:15], s[6:7], v[36:37]
	v_mul_f64_e32 v[16:17], s[6:7], v[0:1]
	v_mul_f64_e32 v[18:19], s[6:7], v[38:39]
	v_mul_f64_e32 v[20:21], s[6:7], v[40:41]
	v_mul_f64_e32 v[22:23], s[6:7], v[42:43]
	v_mul_f64_e32 v[24:25], s[6:7], v[44:45]
	v_mul_f64_e32 v[26:27], s[6:7], v[46:47]
	v_mul_f64_e32 v[28:29], s[6:7], v[48:49]
	v_add_co_u32 v34, s0, v56, s2
	v_mul_f64_e32 v[30:31], s[6:7], v[50:51]
	v_mul_f64_e32 v[32:33], s[6:7], v[52:53]
	s_wait_alu 0xf1ff
	v_add_co_ci_u32_e64 v35, s0, s3, v57, s0
	v_add_co_u32 v36, s0, v34, s2
	s_wait_alu 0xfffe
	s_lshl_b64 s[4:5], s[4:5], 4
	s_delay_alu instid0(VALU_DEP_2) | instskip(SKIP_3) | instid1(VALU_DEP_2)
	v_add_co_ci_u32_e64 v37, s0, s3, v35, s0
	s_wait_alu 0xfffe
	v_add_co_u32 v38, s0, v36, s4
	s_wait_alu 0xf1ff
	v_add_co_ci_u32_e64 v39, s0, s5, v37, s0
	s_delay_alu instid0(VALU_DEP_2) | instskip(SKIP_1) | instid1(VALU_DEP_2)
	v_add_co_u32 v40, s0, v38, s2
	s_wait_alu 0xf1ff
	v_add_co_ci_u32_e64 v41, s0, s3, v39, s0
	s_delay_alu instid0(VALU_DEP_2) | instskip(SKIP_1) | instid1(VALU_DEP_2)
	;; [unrolled: 4-line block ×3, first 2 shown]
	v_add_co_u32 v0, s0, v42, s2
	s_wait_alu 0xf1ff
	v_add_co_ci_u32_e64 v1, s0, s3, v43, s0
	s_clause 0x4
	global_store_b128 v[54:55], v[2:5], off
	global_store_b128 v[56:57], v[6:9], off
	;; [unrolled: 1-line block ×8, first 2 shown]
	s_and_b32 exec_lo, exec_lo, vcc_lo
	s_cbranch_execz .LBB0_39
; %bb.38:
	s_clause 0x3
	global_load_b128 v[2:5], v[169:170], off offset:5632
	global_load_b128 v[6:9], v[169:170], off offset:11968
	;; [unrolled: 1-line block ×4, first 2 shown]
	ds_load_b128 v[18:21], v219 offset:5632
	ds_load_b128 v[22:25], v219 offset:11968
	;; [unrolled: 1-line block ×4, first 2 shown]
	v_add_co_u32 v0, vcc_lo, v0, s4
	s_wait_alu 0xfffd
	v_add_co_ci_u32_e32 v1, vcc_lo, s5, v1, vcc_lo
	s_wait_loadcnt_dscnt 0x303
	v_mul_f64_e32 v[34:35], v[20:21], v[4:5]
	v_mul_f64_e32 v[4:5], v[18:19], v[4:5]
	s_wait_loadcnt_dscnt 0x202
	v_mul_f64_e32 v[36:37], v[24:25], v[8:9]
	v_mul_f64_e32 v[8:9], v[22:23], v[8:9]
	;; [unrolled: 3-line block ×4, first 2 shown]
	v_fma_f64 v[18:19], v[18:19], v[2:3], v[34:35]
	v_fma_f64 v[4:5], v[2:3], v[20:21], -v[4:5]
	v_fma_f64 v[20:21], v[22:23], v[6:7], v[36:37]
	v_fma_f64 v[8:9], v[6:7], v[24:25], -v[8:9]
	;; [unrolled: 2-line block ×4, first 2 shown]
	v_mul_f64_e32 v[2:3], s[6:7], v[18:19]
	v_mul_f64_e32 v[4:5], s[6:7], v[4:5]
	;; [unrolled: 1-line block ×8, first 2 shown]
	v_add_co_u32 v18, vcc_lo, v0, s2
	s_wait_alu 0xfffd
	v_add_co_ci_u32_e32 v19, vcc_lo, s3, v1, vcc_lo
	s_delay_alu instid0(VALU_DEP_2) | instskip(SKIP_1) | instid1(VALU_DEP_2)
	v_add_co_u32 v20, vcc_lo, v18, s2
	s_wait_alu 0xfffd
	v_add_co_ci_u32_e32 v21, vcc_lo, s3, v19, vcc_lo
	s_delay_alu instid0(VALU_DEP_2) | instskip(SKIP_1) | instid1(VALU_DEP_2)
	v_add_co_u32 v22, vcc_lo, v20, s2
	s_wait_alu 0xfffd
	v_add_co_ci_u32_e32 v23, vcc_lo, s3, v21, vcc_lo
	global_store_b128 v[0:1], v[2:5], off
	global_store_b128 v[18:19], v[6:9], off
	;; [unrolled: 1-line block ×4, first 2 shown]
.LBB0_39:
	s_nop 0
	s_sendmsg sendmsg(MSG_DEALLOC_VGPRS)
	s_endpgm
	.section	.rodata,"a",@progbits
	.p2align	6, 0x0
	.amdhsa_kernel bluestein_single_fwd_len1584_dim1_dp_op_CI_CI
		.amdhsa_group_segment_fixed_size 25344
		.amdhsa_private_segment_fixed_size 68
		.amdhsa_kernarg_size 104
		.amdhsa_user_sgpr_count 2
		.amdhsa_user_sgpr_dispatch_ptr 0
		.amdhsa_user_sgpr_queue_ptr 0
		.amdhsa_user_sgpr_kernarg_segment_ptr 1
		.amdhsa_user_sgpr_dispatch_id 0
		.amdhsa_user_sgpr_private_segment_size 0
		.amdhsa_wavefront_size32 1
		.amdhsa_uses_dynamic_stack 0
		.amdhsa_enable_private_segment 1
		.amdhsa_system_sgpr_workgroup_id_x 1
		.amdhsa_system_sgpr_workgroup_id_y 0
		.amdhsa_system_sgpr_workgroup_id_z 0
		.amdhsa_system_sgpr_workgroup_info 0
		.amdhsa_system_vgpr_workitem_id 0
		.amdhsa_next_free_vgpr 256
		.amdhsa_next_free_sgpr 44
		.amdhsa_reserve_vcc 1
		.amdhsa_float_round_mode_32 0
		.amdhsa_float_round_mode_16_64 0
		.amdhsa_float_denorm_mode_32 3
		.amdhsa_float_denorm_mode_16_64 3
		.amdhsa_fp16_overflow 0
		.amdhsa_workgroup_processor_mode 1
		.amdhsa_memory_ordered 1
		.amdhsa_forward_progress 0
		.amdhsa_round_robin_scheduling 0
		.amdhsa_exception_fp_ieee_invalid_op 0
		.amdhsa_exception_fp_denorm_src 0
		.amdhsa_exception_fp_ieee_div_zero 0
		.amdhsa_exception_fp_ieee_overflow 0
		.amdhsa_exception_fp_ieee_underflow 0
		.amdhsa_exception_fp_ieee_inexact 0
		.amdhsa_exception_int_div_zero 0
	.end_amdhsa_kernel
	.text
.Lfunc_end0:
	.size	bluestein_single_fwd_len1584_dim1_dp_op_CI_CI, .Lfunc_end0-bluestein_single_fwd_len1584_dim1_dp_op_CI_CI
                                        ; -- End function
	.section	.AMDGPU.csdata,"",@progbits
; Kernel info:
; codeLenInByte = 15556
; NumSgprs: 46
; NumVgprs: 256
; ScratchSize: 68
; MemoryBound: 0
; FloatMode: 240
; IeeeMode: 1
; LDSByteSize: 25344 bytes/workgroup (compile time only)
; SGPRBlocks: 5
; VGPRBlocks: 31
; NumSGPRsForWavesPerEU: 46
; NumVGPRsForWavesPerEU: 256
; Occupancy: 5
; WaveLimiterHint : 1
; COMPUTE_PGM_RSRC2:SCRATCH_EN: 1
; COMPUTE_PGM_RSRC2:USER_SGPR: 2
; COMPUTE_PGM_RSRC2:TRAP_HANDLER: 0
; COMPUTE_PGM_RSRC2:TGID_X_EN: 1
; COMPUTE_PGM_RSRC2:TGID_Y_EN: 0
; COMPUTE_PGM_RSRC2:TGID_Z_EN: 0
; COMPUTE_PGM_RSRC2:TIDIG_COMP_CNT: 0
	.text
	.p2alignl 7, 3214868480
	.fill 96, 4, 3214868480
	.type	__hip_cuid_6345f8d1192a560b,@object ; @__hip_cuid_6345f8d1192a560b
	.section	.bss,"aw",@nobits
	.globl	__hip_cuid_6345f8d1192a560b
__hip_cuid_6345f8d1192a560b:
	.byte	0                               ; 0x0
	.size	__hip_cuid_6345f8d1192a560b, 1

	.ident	"AMD clang version 19.0.0git (https://github.com/RadeonOpenCompute/llvm-project roc-6.4.0 25133 c7fe45cf4b819c5991fe208aaa96edf142730f1d)"
	.section	".note.GNU-stack","",@progbits
	.addrsig
	.addrsig_sym __hip_cuid_6345f8d1192a560b
	.amdgpu_metadata
---
amdhsa.kernels:
  - .args:
      - .actual_access:  read_only
        .address_space:  global
        .offset:         0
        .size:           8
        .value_kind:     global_buffer
      - .actual_access:  read_only
        .address_space:  global
        .offset:         8
        .size:           8
        .value_kind:     global_buffer
      - .actual_access:  read_only
        .address_space:  global
        .offset:         16
        .size:           8
        .value_kind:     global_buffer
      - .actual_access:  read_only
        .address_space:  global
        .offset:         24
        .size:           8
        .value_kind:     global_buffer
      - .actual_access:  read_only
        .address_space:  global
        .offset:         32
        .size:           8
        .value_kind:     global_buffer
      - .offset:         40
        .size:           8
        .value_kind:     by_value
      - .address_space:  global
        .offset:         48
        .size:           8
        .value_kind:     global_buffer
      - .address_space:  global
        .offset:         56
        .size:           8
        .value_kind:     global_buffer
      - .address_space:  global
        .offset:         64
        .size:           8
        .value_kind:     global_buffer
      - .address_space:  global
        .offset:         72
        .size:           8
        .value_kind:     global_buffer
      - .offset:         80
        .size:           4
        .value_kind:     by_value
      - .address_space:  global
        .offset:         88
        .size:           8
        .value_kind:     global_buffer
      - .address_space:  global
        .offset:         96
        .size:           8
        .value_kind:     global_buffer
    .group_segment_fixed_size: 25344
    .kernarg_segment_align: 8
    .kernarg_segment_size: 104
    .language:       OpenCL C
    .language_version:
      - 2
      - 0
    .max_flat_workgroup_size: 176
    .name:           bluestein_single_fwd_len1584_dim1_dp_op_CI_CI
    .private_segment_fixed_size: 68
    .sgpr_count:     46
    .sgpr_spill_count: 0
    .symbol:         bluestein_single_fwd_len1584_dim1_dp_op_CI_CI.kd
    .uniform_work_group_size: 1
    .uses_dynamic_stack: false
    .vgpr_count:     256
    .vgpr_spill_count: 16
    .wavefront_size: 32
    .workgroup_processor_mode: 1
amdhsa.target:   amdgcn-amd-amdhsa--gfx1201
amdhsa.version:
  - 1
  - 2
...

	.end_amdgpu_metadata
